;; amdgpu-corpus repo=ROCm/rocFFT kind=compiled arch=gfx1201 opt=O3
	.text
	.amdgcn_target "amdgcn-amd-amdhsa--gfx1201"
	.amdhsa_code_object_version 6
	.protected	bluestein_single_fwd_len702_dim1_sp_op_CI_CI ; -- Begin function bluestein_single_fwd_len702_dim1_sp_op_CI_CI
	.globl	bluestein_single_fwd_len702_dim1_sp_op_CI_CI
	.p2align	8
	.type	bluestein_single_fwd_len702_dim1_sp_op_CI_CI,@function
bluestein_single_fwd_len702_dim1_sp_op_CI_CI: ; @bluestein_single_fwd_len702_dim1_sp_op_CI_CI
; %bb.0:
	s_load_b128 s[8:11], s[0:1], 0x28
	v_mul_u32_u24_e32 v1, 0x231, v0
	s_mov_b32 s2, exec_lo
	v_mov_b32_e32 v49, 0
	s_delay_alu instid0(VALU_DEP_2) | instskip(NEXT) | instid1(VALU_DEP_1)
	v_lshrrev_b32_e32 v1, 16, v1
	v_add_nc_u32_e32 v48, ttmp9, v1
	s_wait_kmcnt 0x0
	s_delay_alu instid0(VALU_DEP_1)
	v_cmpx_gt_u64_e64 s[8:9], v[48:49]
	s_cbranch_execz .LBB0_15
; %bb.1:
	s_clause 0x1
	s_load_b64 s[8:9], s[0:1], 0x0
	s_load_b64 s[12:13], s[0:1], 0x38
	v_mul_lo_u16 v1, 0x75, v1
	s_delay_alu instid0(VALU_DEP_1) | instskip(NEXT) | instid1(VALU_DEP_1)
	v_sub_nc_u16 v0, v0, v1
	v_and_b32_e32 v60, 0xffff, v0
	v_cmp_gt_u16_e32 vcc_lo, 54, v0
	s_delay_alu instid0(VALU_DEP_2)
	v_lshlrev_b32_e32 v59, 3, v60
	s_and_saveexec_b32 s3, vcc_lo
	s_cbranch_execz .LBB0_3
; %bb.2:
	s_load_b64 s[4:5], s[0:1], 0x18
	s_delay_alu instid0(VALU_DEP_1)
	v_add_nc_u32_e32 v56, 0x800, v59
	s_wait_kmcnt 0x0
	s_load_b128 s[4:7], s[4:5], 0x0
	s_wait_kmcnt 0x0
	v_mad_co_u64_u32 v[0:1], null, s6, v48, 0
	v_mad_co_u64_u32 v[2:3], null, s4, v60, 0
	s_delay_alu instid0(VALU_DEP_1) | instskip(NEXT) | instid1(VALU_DEP_1)
	v_mad_co_u64_u32 v[4:5], null, s7, v48, v[1:2]
	v_mad_co_u64_u32 v[5:6], null, s5, v60, v[3:4]
	v_mov_b32_e32 v1, v4
	s_mul_u64 s[4:5], s[4:5], 0x1b0
	s_delay_alu instid0(VALU_DEP_1) | instskip(NEXT) | instid1(VALU_DEP_3)
	v_lshlrev_b64_e32 v[0:1], 3, v[0:1]
	v_mov_b32_e32 v3, v5
	s_delay_alu instid0(VALU_DEP_2) | instskip(NEXT) | instid1(VALU_DEP_2)
	v_add_co_u32 v10, s2, s10, v0
	v_lshlrev_b64_e32 v[2:3], 3, v[2:3]
	s_delay_alu instid0(VALU_DEP_4)
	v_add_co_ci_u32_e64 v11, s2, s11, v1, s2
	s_clause 0xa
	global_load_b64 v[0:1], v59, s[8:9]
	global_load_b64 v[4:5], v59, s[8:9] offset:432
	global_load_b64 v[6:7], v59, s[8:9] offset:864
	;; [unrolled: 1-line block ×10, first 2 shown]
	v_add_co_u32 v2, s2, v10, v2
	s_wait_alu 0xf1ff
	v_add_co_ci_u32_e64 v3, s2, v11, v3, s2
	s_wait_alu 0xfffe
	s_delay_alu instid0(VALU_DEP_2) | instskip(SKIP_1) | instid1(VALU_DEP_2)
	v_add_co_u32 v10, s2, v2, s4
	s_wait_alu 0xf1ff
	v_add_co_ci_u32_e64 v11, s2, s5, v3, s2
	global_load_b64 v[2:3], v[2:3], off
	v_add_co_u32 v20, s2, v10, s4
	s_wait_alu 0xf1ff
	v_add_co_ci_u32_e64 v21, s2, s5, v11, s2
	s_delay_alu instid0(VALU_DEP_2) | instskip(SKIP_1) | instid1(VALU_DEP_2)
	v_add_co_u32 v28, s2, v20, s4
	s_wait_alu 0xf1ff
	v_add_co_ci_u32_e64 v29, s2, s5, v21, s2
	s_delay_alu instid0(VALU_DEP_2) | instskip(SKIP_1) | instid1(VALU_DEP_2)
	v_add_co_u32 v30, s2, v28, s4
	s_wait_alu 0xf1ff
	v_add_co_ci_u32_e64 v31, s2, s5, v29, s2
	s_clause 0x2
	global_load_b64 v[10:11], v[10:11], off
	global_load_b64 v[20:21], v[20:21], off
	;; [unrolled: 1-line block ×3, first 2 shown]
	v_add_co_u32 v32, s2, v30, s4
	s_wait_alu 0xf1ff
	v_add_co_ci_u32_e64 v33, s2, s5, v31, s2
	global_load_b64 v[30:31], v[30:31], off
	v_add_co_u32 v34, s2, v32, s4
	s_wait_alu 0xf1ff
	v_add_co_ci_u32_e64 v35, s2, s5, v33, s2
	global_load_b64 v[32:33], v[32:33], off
	;; [unrolled: 4-line block ×7, first 2 shown]
	v_add_co_u32 v46, s2, v44, s4
	s_wait_alu 0xf1ff
	v_add_co_ci_u32_e64 v47, s2, s5, v45, s2
	global_load_b64 v[49:50], v59, s[8:9] offset:4752
	global_load_b64 v[44:45], v[44:45], off
	global_load_b64 v[51:52], v59, s[8:9] offset:5184
	global_load_b64 v[46:47], v[46:47], off
	v_add_nc_u32_e32 v55, 0x400, v59
	v_add_nc_u32_e32 v57, 0x1000, v59
	s_wait_loadcnt 0xe
	v_mul_f32_e32 v53, v3, v1
	v_mul_f32_e32 v54, v2, v1
	s_delay_alu instid0(VALU_DEP_2) | instskip(NEXT) | instid1(VALU_DEP_2)
	v_fmac_f32_e32 v53, v2, v0
	v_fma_f32 v54, v3, v0, -v54
	s_wait_loadcnt 0xc
	v_dual_mul_f32 v0, v10, v5 :: v_dual_mul_f32 v3, v21, v7
	v_mul_f32_e32 v7, v20, v7
	s_delay_alu instid0(VALU_DEP_2) | instskip(SKIP_1) | instid1(VALU_DEP_3)
	v_fma_f32 v2, v11, v4, -v0
	s_wait_loadcnt 0xa
	v_dual_fmac_f32 v3, v20, v6 :: v_dual_mul_f32 v0, v31, v13
	v_mul_f32_e32 v1, v11, v5
	v_mul_f32_e32 v5, v29, v9
	s_delay_alu instid0(VALU_DEP_3) | instskip(NEXT) | instid1(VALU_DEP_3)
	v_dual_mul_f32 v9, v28, v9 :: v_dual_fmac_f32 v0, v30, v12
	v_fmac_f32_e32 v1, v10, v4
	s_delay_alu instid0(VALU_DEP_3) | instskip(SKIP_3) | instid1(VALU_DEP_1)
	v_fmac_f32_e32 v5, v28, v8
	ds_store_2addr_b64 v59, v[53:54], v[1:2] offset1:54
	s_wait_loadcnt 0x9
	v_mul_f32_e32 v2, v33, v15
	v_fmac_f32_e32 v2, v32, v14
	s_wait_loadcnt 0x5
	v_mul_f32_e32 v10, v41, v25
	v_fma_f32 v4, v21, v6, -v7
	v_fma_f32 v6, v29, v8, -v9
	v_dual_mul_f32 v8, v39, v23 :: v_dual_mul_f32 v7, v30, v13
	s_delay_alu instid0(VALU_DEP_4) | instskip(NEXT) | instid1(VALU_DEP_2)
	v_dual_mul_f32 v9, v38, v23 :: v_dual_fmac_f32 v10, v40, v24
	v_fmac_f32_e32 v8, v38, v22
	ds_store_2addr_b64 v59, v[3:4], v[5:6] offset0:108 offset1:162
	v_mul_f32_e32 v4, v35, v17
	v_mul_f32_e32 v5, v34, v17
	v_fma_f32 v1, v31, v12, -v7
	s_wait_loadcnt 0x4
	v_mul_f32_e32 v12, v43, v27
	v_mul_f32_e32 v3, v32, v15
	;; [unrolled: 1-line block ×3, first 2 shown]
	v_dual_mul_f32 v7, v36, v19 :: v_dual_fmac_f32 v4, v34, v16
	v_fma_f32 v5, v35, v16, -v5
	s_wait_loadcnt 0x0
	v_dual_mul_f32 v16, v47, v52 :: v_dual_mul_f32 v11, v40, v25
	v_fmac_f32_e32 v12, v42, v26
	v_fma_f32 v3, v33, v14, -v3
	v_mul_f32_e32 v14, v45, v50
	s_delay_alu instid0(VALU_DEP_4) | instskip(SKIP_2) | instid1(VALU_DEP_4)
	v_fmac_f32_e32 v16, v46, v51
	v_mul_f32_e32 v13, v42, v27
	v_mul_f32_e32 v15, v44, v50
	v_dual_mul_f32 v17, v46, v52 :: v_dual_fmac_f32 v14, v44, v49
	v_fmac_f32_e32 v6, v36, v18
	v_fma_f32 v7, v37, v18, -v7
	v_fma_f32 v9, v39, v22, -v9
	v_fma_f32 v11, v41, v24, -v11
	v_fma_f32 v13, v43, v26, -v13
	v_fma_f32 v15, v45, v49, -v15
	v_fma_f32 v17, v47, v51, -v17
	ds_store_2addr_b64 v55, v[0:1], v[2:3] offset0:88 offset1:142
	ds_store_2addr_b64 v56, v[4:5], v[6:7] offset0:68 offset1:122
	;; [unrolled: 1-line block ×4, first 2 shown]
	ds_store_b64 v59, v[16:17] offset:5184
.LBB0_3:
	s_or_b32 exec_lo, exec_lo, s3
	s_clause 0x1
	s_load_b64 s[2:3], s[0:1], 0x20
	s_load_b64 s[4:5], s[0:1], 0x8
	v_mov_b32_e32 v12, 0
	v_mov_b32_e32 v13, 0
	global_wb scope:SCOPE_SE
	s_wait_dscnt 0x0
	s_wait_kmcnt 0x0
	s_barrier_signal -1
	s_barrier_wait -1
	global_inv scope:SCOPE_SE
                                        ; implicit-def: $vgpr26
                                        ; implicit-def: $vgpr20
                                        ; implicit-def: $vgpr16
                                        ; implicit-def: $vgpr36
                                        ; implicit-def: $vgpr30
                                        ; implicit-def: $vgpr34
	s_and_saveexec_b32 s0, vcc_lo
	s_cbranch_execz .LBB0_5
; %bb.4:
	v_add_nc_u32_e32 v0, 0x400, v59
	v_add_nc_u32_e32 v1, 0x800, v59
	;; [unrolled: 1-line block ×3, first 2 shown]
	ds_load_2addr_b64 v[12:15], v59 offset1:54
	ds_load_2addr_b64 v[32:35], v59 offset0:108 offset1:162
	ds_load_2addr_b64 v[28:31], v0 offset0:88 offset1:142
	;; [unrolled: 1-line block ×5, first 2 shown]
	ds_load_b64 v[36:37], v59 offset:5184
.LBB0_5:
	s_wait_alu 0xfffe
	s_or_b32 exec_lo, exec_lo, s0
	s_wait_dscnt 0x0
	v_dual_sub_f32 v4, v15, v37 :: v_dual_sub_f32 v5, v14, v36
	v_dual_add_f32 v69, v36, v14 :: v_dual_add_f32 v70, v37, v15
	v_dual_add_f32 v76, v18, v32 :: v_dual_add_f32 v79, v17, v35
	s_delay_alu instid0(VALU_DEP_3) | instskip(SKIP_3) | instid1(VALU_DEP_4)
	v_dual_mul_f32 v38, 0xbeedf032, v4 :: v_dual_mul_f32 v39, 0xbeedf032, v5
	v_dual_mul_f32 v44, 0xbf52af12, v5 :: v_dual_sub_f32 v9, v32, v18
	v_sub_f32_e32 v8, v33, v19
	v_dual_sub_f32 v116, v31, v21 :: v_dual_add_f32 v83, v20, v30
	v_fma_f32 v1, 0x3f62ad3f, v70, -v39
	v_mul_f32_e32 v42, 0xbf52af12, v4
	v_fma_f32 v3, 0x3f116cb1, v70, -v44
	v_dual_fmamk_f32 v0, v69, 0x3f62ad3f, v38 :: v_dual_add_f32 v77, v19, v33
	s_delay_alu instid0(VALU_DEP_4) | instskip(NEXT) | instid1(VALU_DEP_3)
	v_add_f32_e32 v1, v1, v13
	v_dual_fmamk_f32 v2, v69, 0x3f116cb1, v42 :: v_dual_add_f32 v3, v3, v13
	s_delay_alu instid0(VALU_DEP_3) | instskip(SKIP_3) | instid1(VALU_DEP_4)
	v_dual_add_f32 v0, v0, v12 :: v_dual_mul_f32 v41, 0xbf52af12, v9
	v_dual_mul_f32 v47, 0xbf6f5d39, v8 :: v_dual_mul_f32 v52, 0xbf6f5d39, v9
	v_add_f32_e32 v84, v21, v31
	v_dual_add_f32 v86, v26, v24 :: v_dual_add_f32 v89, v27, v25
	v_fma_f32 v10, 0x3f116cb1, v77, -v41
	v_mul_f32_e32 v46, 0xbf7e222b, v4
	v_fmamk_f32 v11, v76, 0xbeb58ec6, v47
	v_mul_f32_e32 v61, 0xbe750f2a, v8
	v_fma_f32 v43, 0xbeb58ec6, v77, -v52
	v_dual_add_f32 v1, v10, v1 :: v_dual_mul_f32 v40, 0xbf52af12, v8
	v_add_f32_e32 v2, v2, v12
	v_fmamk_f32 v6, v69, 0x3df6dbef, v46
	v_sub_f32_e32 v10, v35, v17
	v_dual_mul_f32 v54, 0xbf7e222b, v5 :: v_dual_add_f32 v3, v43, v3
	s_delay_alu instid0(VALU_DEP_4) | instskip(SKIP_1) | instid1(VALU_DEP_3)
	v_dual_fmamk_f32 v7, v76, 0x3f116cb1, v40 :: v_dual_add_f32 v2, v11, v2
	v_sub_f32_e32 v11, v34, v16
	v_fma_f32 v49, 0x3df6dbef, v70, -v54
	v_dual_mul_f32 v95, 0x3f29c268, v8 :: v_dual_mul_f32 v102, 0x3f29c268, v9
	s_delay_alu instid0(VALU_DEP_3) | instskip(SKIP_4) | instid1(VALU_DEP_4)
	v_dual_add_f32 v0, v7, v0 :: v_dual_mul_f32 v45, 0xbf7e222b, v11
	v_mul_f32_e32 v56, 0xbe750f2a, v11
	v_fmamk_f32 v7, v76, 0xbf788fa5, v61
	v_dual_mul_f32 v55, 0xbe750f2a, v10 :: v_dual_add_f32 v6, v6, v12
	v_mul_f32_e32 v43, 0xbf7e222b, v10
	v_fma_f32 v57, 0xbf788fa5, v79, -v56
	v_add_f32_e32 v78, v16, v34
	v_sub_f32_e32 v115, v28, v22
	v_fma_f32 v51, 0x3df6dbef, v79, -v45
	s_delay_alu instid0(VALU_DEP_4) | instskip(NEXT) | instid1(VALU_DEP_4)
	v_dual_add_f32 v6, v7, v6 :: v_dual_add_f32 v3, v57, v3
	v_fmamk_f32 v50, v78, 0x3df6dbef, v43
	v_fmamk_f32 v53, v78, 0xbf788fa5, v55
	v_add_f32_e32 v81, v23, v29
	v_add_f32_e32 v1, v51, v1
	v_fma_f32 v96, 0xbf3f9e67, v77, -v102
	v_add_f32_e32 v0, v50, v0
	v_dual_add_f32 v2, v53, v2 :: v_dual_mul_f32 v53, 0xbf6f5d39, v115
	v_mul_f32_e32 v64, 0x3f29c268, v115
	v_dual_mul_f32 v107, 0x3f7e222b, v8 :: v_dual_mul_f32 v112, 0x3f7e222b, v9
	v_sub_f32_e32 v117, v30, v20
	s_delay_alu instid0(VALU_DEP_4) | instskip(SKIP_3) | instid1(VALU_DEP_4)
	v_fma_f32 v57, 0xbeb58ec6, v81, -v53
	v_mul_f32_e32 v68, 0x3f6f5d39, v10
	v_fma_f32 v65, 0xbf3f9e67, v81, -v64
	v_dual_mul_f32 v106, 0xbf52af12, v10 :: v_dual_mul_f32 v113, 0xbf52af12, v11
	v_add_f32_e32 v1, v57, v1
	s_delay_alu instid0(VALU_DEP_4) | instskip(SKIP_2) | instid1(VALU_DEP_3)
	v_dual_sub_f32 v62, v29, v23 :: v_dual_fmamk_f32 v7, v78, 0xbeb58ec6, v68
	v_add_f32_e32 v80, v22, v28
	v_dual_mul_f32 v72, 0x3f7e222b, v117 :: v_dual_sub_f32 v119, v24, v26
	v_mul_f32_e32 v63, 0x3f29c268, v62
	v_mul_f32_e32 v51, 0xbf6f5d39, v62
	v_add_f32_e32 v3, v65, v3
	v_mul_f32_e32 v73, 0x3eedf032, v62
	v_mul_f32_e32 v65, 0x3f7e222b, v116
	v_fmamk_f32 v58, v80, 0xbf3f9e67, v63
	v_fmamk_f32 v50, v80, 0xbeb58ec6, v51
	v_fma_f32 v67, 0x3df6dbef, v84, -v72
	v_dual_add_f32 v6, v7, v6 :: v_dual_mul_f32 v57, 0xbf29c268, v116
	s_delay_alu instid0(VALU_DEP_4) | instskip(NEXT) | instid1(VALU_DEP_4)
	v_dual_add_f32 v2, v58, v2 :: v_dual_fmamk_f32 v7, v80, 0x3f62ad3f, v73
	v_add_f32_e32 v0, v50, v0
	s_delay_alu instid0(VALU_DEP_4) | instskip(NEXT) | instid1(VALU_DEP_3)
	v_dual_mul_f32 v58, 0xbf29c268, v117 :: v_dual_add_f32 v3, v67, v3
	v_dual_mul_f32 v75, 0xbf52af12, v116 :: v_dual_add_f32 v6, v7, v6
	v_sub_f32_e32 v118, v25, v27
	s_delay_alu instid0(VALU_DEP_3)
	v_fma_f32 v66, 0xbf3f9e67, v84, -v58
	v_fmamk_f32 v50, v83, 0xbf3f9e67, v57
	v_mul_f32_e32 v67, 0xbe750f2a, v119
	v_mul_f32_e32 v74, 0x3eedf032, v119
	;; [unrolled: 1-line block ×3, first 2 shown]
	v_add_f32_e32 v1, v66, v1
	v_dual_fmamk_f32 v7, v83, 0x3df6dbef, v65 :: v_dual_add_f32 v0, v50, v0
	v_fma_f32 v50, 0xbf788fa5, v89, -v67
	v_fma_f32 v91, 0x3f62ad3f, v89, -v74
	v_add_f32_e32 v90, v49, v13
	s_delay_alu instid0(VALU_DEP_4)
	v_add_f32_e32 v2, v7, v2
	v_fmamk_f32 v7, v83, 0x3f116cb1, v75
	v_mul_f32_e32 v66, 0xbe750f2a, v118
	v_mul_f32_e32 v71, 0x3eedf032, v118
	v_fma_f32 v92, 0xbf788fa5, v77, -v87
	v_dual_mul_f32 v82, 0xbf29c268, v118 :: v_dual_add_f32 v3, v91, v3
	s_delay_alu instid0(VALU_DEP_4) | instskip(NEXT) | instid1(VALU_DEP_4)
	v_dual_add_f32 v6, v7, v6 :: v_dual_fmamk_f32 v7, v86, 0xbf788fa5, v66
	v_fmamk_f32 v85, v86, 0x3f62ad3f, v71
	v_mul_f32_e32 v88, 0x3f6f5d39, v11
	v_mul_f32_e32 v109, 0x3e750f2a, v62
	v_fma_f32 v122, 0x3df6dbef, v77, -v112
	v_dual_add_f32 v49, v7, v0 :: v_dual_add_f32 v0, v92, v90
	v_fmamk_f32 v7, v86, 0xbf3f9e67, v82
	v_add_f32_e32 v50, v50, v1
	v_fma_f32 v1, 0xbeb58ec6, v79, -v88
	v_dual_add_f32 v2, v85, v2 :: v_dual_mul_f32 v85, 0xbf52af12, v117
	v_mul_f32_e32 v93, 0xbf6f5d39, v4
	s_delay_alu instid0(VALU_DEP_3)
	v_dual_mul_f32 v92, 0x3eedf032, v10 :: v_dual_add_f32 v1, v1, v0
	v_add_f32_e32 v0, v7, v6
	v_mul_f32_e32 v90, 0x3eedf032, v115
	v_fma_f32 v6, 0x3f116cb1, v84, -v85
	v_fmamk_f32 v7, v69, 0xbeb58ec6, v93
	v_mul_f32_e32 v101, 0xbf6f5d39, v5
	v_mul_f32_e32 v97, 0xbf7e222b, v115
	v_fma_f32 v91, 0x3f62ad3f, v81, -v90
	v_mul_f32_e32 v99, 0x3e750f2a, v117
	v_fmamk_f32 v121, v80, 0xbf788fa5, v109
	v_fmamk_f32 v108, v76, 0x3df6dbef, v107
	v_fma_f32 v124, 0x3f116cb1, v79, -v113
	v_add_f32_e32 v1, v91, v1
	v_mul_f32_e32 v105, 0xbf29c268, v4
	global_wb scope:SCOPE_SE
	s_barrier_signal -1
	s_barrier_wait -1
	v_dual_add_f32 v1, v6, v1 :: v_dual_add_f32 v6, v7, v12
	v_fma_f32 v91, 0xbeb58ec6, v70, -v101
	v_fmamk_f32 v7, v76, 0xbf3f9e67, v95
	global_inv scope:SCOPE_SE
	v_mul_f32_e32 v111, 0xbf29c268, v5
	v_mul_f32_e32 v9, 0x3eedf032, v9
	v_dual_add_f32 v94, v91, v13 :: v_dual_mul_f32 v91, 0xbf29c268, v119
	v_add_f32_e32 v6, v7, v6
	v_mul_f32_e32 v100, 0x3eedf032, v11
	v_fma_f32 v110, 0xbf3f9e67, v70, -v111
	s_delay_alu instid0(VALU_DEP_4)
	v_add_f32_e32 v7, v96, v94
	v_mul_f32_e32 v94, 0xbf7e222b, v62
	v_fma_f32 v103, 0xbf3f9e67, v89, -v91
	v_fmamk_f32 v96, v78, 0x3f62ad3f, v92
	v_fma_f32 v98, 0x3f62ad3f, v79, -v100
	v_add_f32_e32 v110, v110, v13
	v_mul_f32_e32 v5, 0xbe750f2a, v5
	s_delay_alu instid0(VALU_DEP_4) | instskip(NEXT) | instid1(VALU_DEP_4)
	v_dual_add_f32 v1, v103, v1 :: v_dual_add_f32 v6, v96, v6
	v_add_f32_e32 v7, v98, v7
	v_fma_f32 v98, 0x3df6dbef, v81, -v97
	v_fmamk_f32 v104, v80, 0x3df6dbef, v94
	v_mul_f32_e32 v96, 0x3e750f2a, v116
	v_dual_fmamk_f32 v103, v69, 0xbf3f9e67, v105 :: v_dual_add_f32 v122, v122, v110
	s_delay_alu instid0(VALU_DEP_3) | instskip(SKIP_1) | instid1(VALU_DEP_4)
	v_dual_add_f32 v7, v98, v7 :: v_dual_add_f32 v6, v104, v6
	v_fma_f32 v104, 0xbf788fa5, v84, -v99
	v_fmamk_f32 v98, v83, 0xbf788fa5, v96
	v_mul_f32_e32 v110, 0x3e750f2a, v115
	v_dual_add_f32 v122, v124, v122 :: v_dual_fmamk_f32 v125, v77, 0x3f62ad3f, v9
	s_delay_alu instid0(VALU_DEP_4) | instskip(NEXT) | instid1(VALU_DEP_4)
	v_dual_add_f32 v7, v104, v7 :: v_dual_add_f32 v104, v103, v12
	v_add_f32_e32 v6, v98, v6
	v_dual_mul_f32 v98, 0x3f52af12, v118 :: v_dual_mul_f32 v103, 0x3f52af12, v119
	v_mul_f32_e32 v124, 0xbe750f2a, v4
	s_delay_alu instid0(VALU_DEP_4)
	v_add_f32_e32 v104, v108, v104
	v_fmamk_f32 v108, v78, 0x3f116cb1, v106
	v_fma_f32 v9, 0x3f62ad3f, v77, -v9
	v_fma_f32 v120, 0x3f116cb1, v89, -v103
	v_fmamk_f32 v114, v86, 0x3f116cb1, v98
	v_mul_f32_e32 v62, 0x3f52af12, v62
	v_add_f32_e32 v104, v108, v104
	s_delay_alu instid0(VALU_DEP_4) | instskip(NEXT) | instid1(VALU_DEP_4)
	v_dual_mul_f32 v108, 0x3eedf032, v116 :: v_dual_add_f32 v7, v120, v7
	v_dual_add_f32 v6, v114, v6 :: v_dual_mul_f32 v11, 0xbf29c268, v11
	s_delay_alu instid0(VALU_DEP_3) | instskip(NEXT) | instid1(VALU_DEP_3)
	v_add_f32_e32 v121, v121, v104
	v_fmamk_f32 v123, v83, 0x3f62ad3f, v108
	v_mul_f32_e32 v127, 0x3f52af12, v115
	s_delay_alu instid0(VALU_DEP_2) | instskip(SKIP_1) | instid1(VALU_DEP_1)
	v_dual_mul_f32 v115, 0xbf6f5d39, v119 :: v_dual_add_f32 v114, v123, v121
	v_fma_f32 v123, 0xbf788fa5, v81, -v110
	v_add_f32_e32 v120, v123, v122
	v_fmamk_f32 v122, v70, 0xbf788fa5, v5
	v_fma_f32 v5, 0xbf788fa5, v70, -v5
	s_delay_alu instid0(VALU_DEP_1) | instskip(NEXT) | instid1(VALU_DEP_1)
	v_dual_mul_f32 v8, 0x3eedf032, v8 :: v_dual_add_f32 v5, v5, v13
	v_fma_f32 v123, 0x3f62ad3f, v76, -v8
	v_mul_f32_e32 v104, 0xbf6f5d39, v118
	s_delay_alu instid0(VALU_DEP_3) | instskip(SKIP_1) | instid1(VALU_DEP_3)
	v_dual_mul_f32 v10, 0xbf29c268, v10 :: v_dual_add_f32 v5, v9, v5
	v_fma_f32 v9, 0xbf3f9e67, v79, -v11
	v_fmamk_f32 v121, v86, 0xbeb58ec6, v104
	s_delay_alu instid0(VALU_DEP_2) | instskip(NEXT) | instid1(VALU_DEP_2)
	v_dual_mul_f32 v116, 0xbf6f5d39, v116 :: v_dual_add_f32 v5, v9, v5
	v_add_f32_e32 v4, v121, v114
	v_fma_f32 v121, 0xbf788fa5, v69, -v124
	v_fma_f32 v9, 0x3f116cb1, v81, -v127
	v_fmac_f32_e32 v8, 0x3f62ad3f, v76
	s_delay_alu instid0(VALU_DEP_3) | instskip(NEXT) | instid1(VALU_DEP_3)
	v_add_f32_e32 v121, v121, v12
	v_add_f32_e32 v5, v9, v5
	s_delay_alu instid0(VALU_DEP_2) | instskip(SKIP_1) | instid1(VALU_DEP_1)
	v_add_f32_e32 v121, v123, v121
	v_fma_f32 v123, 0xbf3f9e67, v78, -v10
	v_add_f32_e32 v121, v123, v121
	v_fma_f32 v123, 0x3f116cb1, v80, -v62
	s_delay_alu instid0(VALU_DEP_1) | instskip(SKIP_1) | instid1(VALU_DEP_1)
	v_add_f32_e32 v121, v123, v121
	v_fmac_f32_e32 v124, 0xbf788fa5, v69
	v_dual_add_f32 v123, v124, v12 :: v_dual_add_f32 v122, v122, v13
	v_fma_f32 v124, 0xbeb58ec6, v83, -v116
	v_fmac_f32_e32 v116, 0xbeb58ec6, v83
	s_delay_alu instid0(VALU_DEP_3) | instskip(NEXT) | instid1(VALU_DEP_4)
	v_add_f32_e32 v8, v8, v123
	v_dual_add_f32 v122, v125, v122 :: v_dual_fmamk_f32 v125, v79, 0xbf3f9e67, v11
	s_delay_alu instid0(VALU_DEP_1) | instskip(SKIP_1) | instid1(VALU_DEP_1)
	v_dual_add_f32 v11, v124, v121 :: v_dual_add_f32 v122, v125, v122
	v_fmamk_f32 v125, v81, 0x3f116cb1, v127
	v_add_f32_e32 v122, v125, v122
	v_mul_f32_e32 v114, 0x3eedf032, v117
	v_mul_f32_e32 v117, 0xbf6f5d39, v117
	s_delay_alu instid0(VALU_DEP_1) | instskip(SKIP_2) | instid1(VALU_DEP_3)
	v_fmamk_f32 v125, v84, 0xbeb58ec6, v117
	v_fma_f32 v9, 0xbeb58ec6, v84, -v117
	v_fmac_f32_e32 v10, 0xbf3f9e67, v78
	v_add_f32_e32 v121, v125, v122
	v_fma_f32 v126, 0x3f62ad3f, v84, -v114
	s_delay_alu instid0(VALU_DEP_3) | instskip(SKIP_2) | instid1(VALU_DEP_4)
	v_add_f32_e32 v8, v10, v8
	v_mul_f32_e32 v10, 0x3f7e222b, v118
	v_dual_mul_f32 v118, 0x3f7e222b, v119 :: v_dual_add_f32 v119, v9, v5
	v_add_f32_e32 v120, v126, v120
	v_fma_f32 v126, 0xbeb58ec6, v89, -v115
	s_delay_alu instid0(VALU_DEP_3) | instskip(SKIP_2) | instid1(VALU_DEP_4)
	v_fmamk_f32 v117, v89, 0x3df6dbef, v118
	v_fma_f32 v118, 0x3df6dbef, v89, -v118
	v_fmac_f32_e32 v62, 0x3f116cb1, v80
	v_add_f32_e32 v5, v126, v120
	s_delay_alu instid0(VALU_DEP_2) | instskip(SKIP_2) | instid1(VALU_DEP_3)
	v_dual_add_f32 v9, v117, v121 :: v_dual_add_f32 v8, v62, v8
	v_fma_f32 v62, 0x3df6dbef, v86, -v10
	v_fmac_f32_e32 v10, 0x3df6dbef, v86
	v_add_f32_e32 v116, v116, v8
	s_delay_alu instid0(VALU_DEP_3) | instskip(SKIP_2) | instid1(VALU_DEP_4)
	v_add_f32_e32 v8, v62, v11
	v_add_f32_e32 v11, v118, v119
	v_mul_lo_u16 v62, v60, 13
	v_add_f32_e32 v10, v10, v116
	s_and_saveexec_b32 s0, vcc_lo
	s_cbranch_execz .LBB0_7
; %bb.6:
	v_dual_mul_f32 v116, 0x3f62ad3f, v69 :: v_dual_mul_f32 v117, 0x3f62ad3f, v70
	v_dual_mul_f32 v118, 0x3f116cb1, v69 :: v_dual_mul_f32 v119, 0x3f116cb1, v70
	;; [unrolled: 1-line block ×10, first 2 shown]
	v_add_f32_e32 v70, v111, v70
	v_dual_mul_f32 v132, 0x3df6dbef, v78 :: v_dual_mul_f32 v133, 0x3df6dbef, v79
	v_dual_mul_f32 v134, 0xbf788fa5, v78 :: v_dual_mul_f32 v135, 0xbf788fa5, v79
	;; [unrolled: 1-line block ×4, first 2 shown]
	v_dual_mul_f32 v78, 0x3f116cb1, v78 :: v_dual_add_f32 v77, v112, v77
	v_mul_f32_e32 v79, 0x3f116cb1, v79
	v_dual_mul_f32 v139, 0xbeb58ec6, v80 :: v_dual_add_f32 v70, v70, v13
	v_sub_f32_e32 v69, v69, v105
	s_delay_alu instid0(VALU_DEP_3)
	v_dual_mul_f32 v112, 0xbeb58ec6, v81 :: v_dual_add_f32 v79, v113, v79
	v_dual_mul_f32 v140, 0xbf3f9e67, v80 :: v_dual_mul_f32 v141, 0xbf3f9e67, v81
	v_mul_f32_e32 v142, 0x3f62ad3f, v80
	v_dual_add_f32 v70, v77, v70 :: v_dual_mul_f32 v113, 0x3df6dbef, v80
	v_mul_f32_e32 v77, 0x3f62ad3f, v81
	v_dual_mul_f32 v105, 0x3df6dbef, v81 :: v_dual_sub_f32 v76, v76, v107
	v_dual_mul_f32 v80, 0xbf788fa5, v80 :: v_dual_mul_f32 v81, 0xbf788fa5, v81
	s_delay_alu instid0(VALU_DEP_4) | instskip(SKIP_1) | instid1(VALU_DEP_3)
	v_dual_add_f32 v70, v79, v70 :: v_dual_add_f32 v69, v69, v12
	v_dual_mul_f32 v107, 0xbf3f9e67, v83 :: v_dual_sub_f32 v78, v78, v106
	v_dual_add_f32 v81, v110, v81 :: v_dual_mul_f32 v110, 0x3df6dbef, v83
	s_delay_alu instid0(VALU_DEP_3) | instskip(SKIP_1) | instid1(VALU_DEP_3)
	v_dual_add_f32 v69, v76, v69 :: v_dual_mul_f32 v106, 0x3df6dbef, v84
	v_mul_f32_e32 v76, 0x3f62ad3f, v84
	v_dual_mul_f32 v79, 0xbf3f9e67, v84 :: v_dual_add_f32 v70, v81, v70
	v_dual_mul_f32 v81, 0x3f116cb1, v83 :: v_dual_sub_f32 v80, v80, v109
	s_delay_alu instid0(VALU_DEP_3) | instskip(SKIP_2) | instid1(VALU_DEP_3)
	v_dual_add_f32 v76, v114, v76 :: v_dual_mul_f32 v109, 0xbeb58ec6, v89
	v_dual_mul_f32 v114, 0x3f116cb1, v84 :: v_dual_add_f32 v69, v78, v69
	v_dual_mul_f32 v78, 0xbf788fa5, v83 :: v_dual_mul_f32 v143, 0xbf788fa5, v86
	v_dual_mul_f32 v83, 0x3f62ad3f, v83 :: v_dual_add_f32 v70, v76, v70
	s_delay_alu instid0(VALU_DEP_4) | instskip(NEXT) | instid1(VALU_DEP_4)
	v_dual_add_f32 v76, v115, v109 :: v_dual_add_f32 v101, v101, v123
	v_dual_add_f32 v69, v80, v69 :: v_dual_mul_f32 v80, 0x3f62ad3f, v86
	s_delay_alu instid0(VALU_DEP_3)
	v_dual_sub_f32 v83, v83, v108 :: v_dual_mul_f32 v108, 0x3f62ad3f, v89
	v_dual_mul_f32 v115, 0xbf3f9e67, v86 :: v_dual_add_f32 v102, v102, v131
	v_dual_sub_f32 v93, v122, v93 :: v_dual_mul_f32 v122, 0x3f116cb1, v86
	v_dual_add_f32 v101, v101, v13 :: v_dual_mul_f32 v86, 0xbeb58ec6, v86
	v_dual_mul_f32 v123, 0xbf3f9e67, v89 :: v_dual_add_f32 v70, v76, v70
	v_dual_add_f32 v69, v83, v69 :: v_dual_sub_f32 v92, v138, v92
	s_delay_alu instid0(VALU_DEP_3) | instskip(SKIP_2) | instid1(VALU_DEP_3)
	v_dual_add_f32 v76, v102, v101 :: v_dual_add_f32 v83, v100, v111
	v_dual_add_f32 v93, v93, v12 :: v_dual_add_f32 v54, v54, v121
	v_dual_mul_f32 v84, 0xbf788fa5, v84 :: v_dual_mul_f32 v109, 0xbf788fa5, v89
	v_dual_sub_f32 v95, v130, v95 :: v_dual_add_f32 v76, v83, v76
	s_delay_alu instid0(VALU_DEP_3) | instskip(SKIP_3) | instid1(VALU_DEP_3)
	v_add_f32_e32 v54, v54, v13
	v_add_f32_e32 v87, v87, v129
	v_dual_add_f32 v83, v97, v105 :: v_dual_add_f32 v14, v14, v12
	v_dual_mul_f32 v89, 0x3f116cb1, v89 :: v_dual_sub_f32 v86, v86, v104
	v_add_f32_e32 v54, v87, v54
	s_delay_alu instid0(VALU_DEP_3) | instskip(NEXT) | instid1(VALU_DEP_4)
	v_dual_add_f32 v76, v83, v76 :: v_dual_add_f32 v87, v88, v137
	v_dual_add_f32 v83, v99, v84 :: v_dual_add_f32 v32, v32, v14
	v_add_f32_e32 v93, v95, v93
	s_delay_alu instid0(VALU_DEP_3) | instskip(NEXT) | instid1(VALU_DEP_3)
	v_dual_add_f32 v77, v90, v77 :: v_dual_add_f32 v54, v87, v54
	v_dual_add_f32 v69, v86, v69 :: v_dual_add_f32 v76, v83, v76
	v_dual_add_f32 v83, v103, v89 :: v_dual_sub_f32 v78, v78, v96
	v_add_f32_e32 v32, v34, v32
	s_delay_alu instid0(VALU_DEP_4)
	v_dual_add_f32 v54, v77, v54 :: v_dual_sub_f32 v61, v128, v61
	v_sub_f32_e32 v86, v120, v46
	v_add_f32_e32 v84, v92, v93
	v_sub_f32_e32 v92, v113, v94
	v_dual_add_f32 v46, v83, v76 :: v_dual_sub_f32 v83, v122, v98
	v_add_f32_e32 v76, v85, v114
	v_dual_add_f32 v44, v44, v119 :: v_dual_add_f32 v15, v15, v13
	v_sub_f32_e32 v42, v118, v42
	v_add_f32_e32 v28, v28, v32
	v_add_f32_e32 v77, v86, v12
	;; [unrolled: 1-line block ×3, first 2 shown]
	v_dual_add_f32 v54, v76, v54 :: v_dual_sub_f32 v47, v126, v47
	v_add_f32_e32 v76, v91, v123
	v_dual_add_f32 v44, v44, v13 :: v_dual_add_f32 v15, v33, v15
	v_add_f32_e32 v42, v42, v12
	v_add_f32_e32 v28, v30, v28
	;; [unrolled: 1-line block ×3, first 2 shown]
	v_dual_sub_f32 v68, v136, v68 :: v_dual_sub_f32 v33, v110, v65
	v_dual_add_f32 v76, v76, v54 :: v_dual_add_f32 v15, v35, v15
	v_dual_sub_f32 v35, v80, v71 :: v_dual_add_f32 v42, v47, v42
	v_sub_f32_e32 v47, v134, v55
	v_dual_sub_f32 v55, v115, v82 :: v_dual_add_f32 v24, v24, v28
	v_add_f32_e32 v52, v52, v127
	v_add_f32_e32 v15, v29, v15
	v_sub_f32_e32 v29, v116, v38
	s_delay_alu instid0(VALU_DEP_4) | instskip(NEXT) | instid1(VALU_DEP_4)
	v_dual_add_f32 v61, v61, v77 :: v_dual_add_f32 v24, v26, v24
	v_add_f32_e32 v44, v52, v44
	v_add_f32_e32 v32, v41, v125
	s_delay_alu instid0(VALU_DEP_4) | instskip(SKIP_3) | instid1(VALU_DEP_3)
	v_add_f32_e32 v12, v29, v12
	v_sub_f32_e32 v29, v124, v40
	v_dual_add_f32 v20, v20, v24 :: v_dual_add_f32 v15, v31, v15
	v_sub_f32_e32 v28, v132, v43
	v_add_f32_e32 v12, v29, v12
	s_delay_alu instid0(VALU_DEP_3) | instskip(SKIP_1) | instid1(VALU_DEP_3)
	v_dual_add_f32 v20, v22, v20 :: v_dual_add_f32 v15, v25, v15
	v_dual_add_f32 v25, v45, v133 :: v_dual_and_b32 v22, 0xffff, v62
	v_add_f32_e32 v12, v28, v12
	s_delay_alu instid0(VALU_DEP_3)
	v_add_f32_e32 v16, v16, v20
	v_add_f32_e32 v34, v39, v117
	;; [unrolled: 1-line block ×3, first 2 shown]
	v_sub_f32_e32 v56, v81, v75
	v_sub_f32_e32 v20, v143, v66
	v_add_f32_e32 v24, v58, v79
	v_dual_add_f32 v13, v34, v13 :: v_dual_add_f32 v42, v47, v42
	v_sub_f32_e32 v47, v140, v63
	v_add_f32_e32 v44, v52, v44
	v_dual_add_f32 v52, v64, v141 :: v_dual_add_f32 v15, v27, v15
	s_delay_alu instid0(VALU_DEP_3) | instskip(SKIP_1) | instid1(VALU_DEP_3)
	v_dual_add_f32 v13, v32, v13 :: v_dual_add_f32 v42, v47, v42
	v_add_f32_e32 v54, v68, v61
	v_dual_sub_f32 v61, v142, v73 :: v_dual_add_f32 v44, v52, v44
	s_delay_alu instid0(VALU_DEP_3) | instskip(NEXT) | instid1(VALU_DEP_4)
	v_add_f32_e32 v13, v25, v13
	v_add_f32_e32 v33, v33, v42
	v_dual_add_f32 v52, v72, v106 :: v_dual_add_f32 v25, v53, v112
	s_delay_alu instid0(VALU_DEP_4) | instskip(SKIP_1) | instid1(VALU_DEP_3)
	v_add_f32_e32 v54, v61, v54
	v_add_f32_e32 v15, v21, v15
	v_dual_sub_f32 v21, v139, v51 :: v_dual_add_f32 v44, v52, v44
	s_delay_alu instid0(VALU_DEP_4) | instskip(NEXT) | instid1(VALU_DEP_3)
	v_dual_add_f32 v52, v74, v108 :: v_dual_add_f32 v13, v25, v13
	v_dual_add_f32 v54, v56, v54 :: v_dual_add_f32 v15, v23, v15
	s_delay_alu instid0(VALU_DEP_3) | instskip(NEXT) | instid1(VALU_DEP_3)
	v_add_f32_e32 v12, v21, v12
	v_dual_add_f32 v14, v52, v44 :: v_dual_sub_f32 v21, v107, v57
	s_delay_alu instid0(VALU_DEP_3) | instskip(NEXT) | instid1(VALU_DEP_4)
	v_add_f32_e32 v75, v55, v54
	v_add_f32_e32 v15, v17, v15
	;; [unrolled: 1-line block ×3, first 2 shown]
	s_delay_alu instid0(VALU_DEP_4) | instskip(SKIP_1) | instid1(VALU_DEP_4)
	v_dual_add_f32 v45, v83, v78 :: v_dual_add_f32 v12, v21, v12
	v_add_f32_e32 v21, v18, v16
	v_add_f32_e32 v19, v19, v15
	s_delay_alu instid0(VALU_DEP_3) | instskip(NEXT) | instid1(VALU_DEP_2)
	v_add_f32_e32 v15, v20, v12
	v_dual_add_f32 v13, v24, v13 :: v_dual_add_f32 v18, v37, v19
	v_lshlrev_b32_e32 v12, 3, v22
	s_delay_alu instid0(VALU_DEP_2)
	v_add_f32_e32 v16, v17, v13
	v_add_f32_e32 v17, v36, v21
	v_add_f32_e32 v13, v35, v33
	ds_store_2addr_b64 v12, v[17:18], v[15:16] offset1:1
	ds_store_2addr_b64 v12, v[13:14], v[75:76] offset0:2 offset1:3
	ds_store_2addr_b64 v12, v[45:46], v[69:70] offset0:4 offset1:5
	;; [unrolled: 1-line block ×5, first 2 shown]
	ds_store_b64 v12, v[49:50] offset:96
.LBB0_7:
	s_wait_alu 0xfffe
	s_or_b32 exec_lo, exec_lo, s0
	v_and_b32_e32 v20, 0xff, v60
	v_add_co_u32 v40, null, 0x75, v60
	s_load_b128 s[0:3], s[2:3], 0x0
	global_wb scope:SCOPE_SE
	s_wait_dscnt 0x0
	v_mul_lo_u16 v12, 0x4f, v20
	v_and_b32_e32 v13, 0xff, v40
	s_wait_kmcnt 0x0
	s_barrier_signal -1
	s_barrier_wait -1
	global_inv scope:SCOPE_SE
	v_lshrrev_b16 v28, 10, v12
	v_mul_lo_u16 v12, 0x4f, v13
	v_mul_lo_u16 v20, 0xa5, v20
	v_and_b32_e32 v22, 0xffff, v60
	s_delay_alu instid0(VALU_DEP_4) | instskip(NEXT) | instid1(VALU_DEP_4)
	v_mul_lo_u16 v13, v28, 13
	v_lshrrev_b16 v29, 10, v12
	s_delay_alu instid0(VALU_DEP_4) | instskip(NEXT) | instid1(VALU_DEP_3)
	v_lshrrev_b16 v20, 8, v20
	v_sub_nc_u16 v12, v60, v13
	s_delay_alu instid0(VALU_DEP_3) | instskip(NEXT) | instid1(VALU_DEP_3)
	v_mul_lo_u16 v13, v29, 13
	v_sub_nc_u16 v21, v60, v20
	s_delay_alu instid0(VALU_DEP_3) | instskip(NEXT) | instid1(VALU_DEP_3)
	v_and_b32_e32 v32, 0xff, v12
	v_sub_nc_u16 v12, v40, v13
	s_delay_alu instid0(VALU_DEP_3) | instskip(SKIP_1) | instid1(VALU_DEP_4)
	v_lshrrev_b16 v21, 1, v21
	v_lshlrev_b32_e32 v40, 4, v40
	v_lshlrev_b32_e32 v13, 4, v32
	s_delay_alu instid0(VALU_DEP_4)
	v_and_b32_e32 v33, 0xff, v12
	global_load_b128 v[16:19], v13, s[4:5]
	v_lshlrev_b32_e32 v12, 4, v33
	v_lshlrev_b32_e32 v61, 3, v22
	global_load_b128 v[12:15], v12, s[4:5]
	v_and_b32_e32 v21, 0x7f, v21
	v_add_nc_u32_e32 v53, 0x400, v61
	v_add_nc_u32_e32 v54, 0xc00, v61
	s_delay_alu instid0(VALU_DEP_3) | instskip(SKIP_4) | instid1(VALU_DEP_2)
	v_add_nc_u16 v30, v21, v20
	ds_load_2addr_b64 v[20:23], v53 offset0:106 offset1:223
	ds_load_2addr_b64 v[24:27], v54 offset0:84 offset1:201
	v_and_b32_e32 v28, 0xffff, v28
	v_lshrrev_b16 v30, 5, v30
	v_mul_u32_u24_e32 v34, 39, v28
	s_wait_loadcnt_dscnt 0x0
	v_dual_mul_f32 v36, v26, v15 :: v_dual_and_b32 v29, 0xffff, v29
	s_delay_alu instid0(VALU_DEP_1) | instskip(NEXT) | instid1(VALU_DEP_2)
	v_fmac_f32_e32 v36, v27, v14
	v_mul_u32_u24_e32 v35, 39, v29
	s_delay_alu instid0(VALU_DEP_1) | instskip(SKIP_4) | instid1(VALU_DEP_4)
	v_add_lshl_u32 v63, v35, v33, 3
	v_mul_f32_e32 v33, v21, v17
	v_mul_f32_e32 v35, v25, v19
	v_add_lshl_u32 v64, v34, v32, 3
	v_mul_f32_e32 v34, v20, v17
	v_fma_f32 v20, v20, v16, -v33
	v_and_b32_e32 v41, 7, v30
	s_delay_alu instid0(VALU_DEP_3)
	v_dual_mul_f32 v33, v22, v13 :: v_dual_fmac_f32 v34, v21, v16
	ds_load_2addr_b64 v[28:31], v61 offset1:117
	v_fma_f32 v21, v24, v18, -v35
	v_mul_lo_u16 v32, v41, 39
	v_mul_f32_e32 v35, v27, v15
	v_fmac_f32_e32 v33, v23, v12
	global_wb scope:SCOPE_SE
	s_wait_dscnt 0x0
	s_barrier_signal -1
	v_sub_nc_u16 v32, v60, v32
	v_fma_f32 v26, v26, v14, -v35
	v_sub_f32_e32 v35, v20, v21
	s_barrier_wait -1
	global_inv scope:SCOPE_SE
	v_and_b32_e32 v42, 0xff, v32
	v_mul_f32_e32 v32, v24, v19
	v_mul_f32_e32 v24, v23, v13
	s_delay_alu instid0(VALU_DEP_2) | instskip(NEXT) | instid1(VALU_DEP_2)
	v_dual_add_f32 v23, v20, v21 :: v_dual_fmac_f32 v32, v25, v18
	v_fma_f32 v24, v22, v12, -v24
	v_dual_add_f32 v27, v29, v34 :: v_dual_add_f32 v22, v28, v20
	s_delay_alu instid0(VALU_DEP_3) | instskip(SKIP_1) | instid1(VALU_DEP_3)
	v_sub_f32_e32 v25, v34, v32
	v_add_f32_e32 v34, v34, v32
	v_dual_add_f32 v20, v22, v21 :: v_dual_add_f32 v21, v27, v32
	v_fma_f32 v22, -0.5, v23, v28
	s_delay_alu instid0(VALU_DEP_3)
	v_fma_f32 v23, -0.5, v34, v29
	v_dual_add_f32 v27, v30, v24 :: v_dual_add_f32 v32, v31, v33
	v_dual_add_f32 v28, v24, v26 :: v_dual_sub_f32 v29, v33, v36
	v_dual_sub_f32 v34, v24, v26 :: v_dual_add_f32 v33, v33, v36
	v_fmamk_f32 v24, v25, 0x3f5db3d7, v22
	v_fmac_f32_e32 v22, 0xbf5db3d7, v25
	s_delay_alu instid0(VALU_DEP_4) | instskip(NEXT) | instid1(VALU_DEP_4)
	v_fma_f32 v30, -0.5, v28, v30
	v_dual_add_f32 v26, v27, v26 :: v_dual_fmac_f32 v31, -0.5, v33
	v_add_f32_e32 v27, v32, v36
	v_mad_co_u64_u32 v[32:33], null, v42, 40, s[4:5]
	s_delay_alu instid0(VALU_DEP_4)
	v_fmamk_f32 v28, v29, 0x3f5db3d7, v30
	v_dual_fmamk_f32 v25, v35, 0xbf5db3d7, v23 :: v_dual_fmac_f32 v30, 0xbf5db3d7, v29
	v_fmac_f32_e32 v23, 0x3f5db3d7, v35
	v_fmamk_f32 v29, v34, 0xbf5db3d7, v31
	v_fmac_f32_e32 v31, 0x3f5db3d7, v34
	ds_store_2addr_b64 v64, v[20:21], v[24:25] offset1:13
	ds_store_b64 v64, v[22:23] offset:208
	ds_store_2addr_b64 v63, v[26:27], v[28:29] offset1:13
	ds_store_b64 v63, v[30:31] offset:208
	global_wb scope:SCOPE_SE
	s_wait_dscnt 0x0
	s_barrier_signal -1
	s_barrier_wait -1
	global_inv scope:SCOPE_SE
	s_clause 0x2
	global_load_b128 v[24:27], v[32:33], off offset:208
	global_load_b128 v[20:23], v[32:33], off offset:224
	global_load_b64 v[51:52], v[32:33], off offset:240
	ds_load_2addr_b64 v[28:31], v61 offset1:117
	ds_load_2addr_b64 v[32:35], v53 offset0:106 offset1:223
	ds_load_2addr_b64 v[36:39], v54 offset0:84 offset1:201
	v_and_b32_e32 v41, 0xffff, v41
	v_lshlrev_b32_e32 v43, 4, v60
	global_wb scope:SCOPE_SE
	s_wait_loadcnt_dscnt 0x0
	s_barrier_signal -1
	s_barrier_wait -1
	global_inv scope:SCOPE_SE
	v_mul_f32_e32 v44, v33, v27
	v_mul_f32_e32 v46, v35, v21
	v_mul_u32_u24_e32 v41, 0xea, v41
	v_dual_mul_f32 v45, v32, v27 :: v_dual_mul_f32 v58, v38, v52
	v_dual_mul_f32 v56, v36, v23 :: v_dual_mul_f32 v57, v39, v52
	s_delay_alu instid0(VALU_DEP_3) | instskip(SKIP_4) | instid1(VALU_DEP_4)
	v_add_lshl_u32 v65, v41, v42, 3
	v_mul_f32_e32 v41, v31, v25
	v_mul_f32_e32 v42, v30, v25
	;; [unrolled: 1-line block ×3, first 2 shown]
	v_dual_fmac_f32 v45, v33, v26 :: v_dual_fmac_f32 v58, v39, v51
	v_fma_f32 v41, v30, v24, -v41
	v_fma_f32 v30, v32, v26, -v44
	v_mul_f32_e32 v55, v37, v23
	v_fmac_f32_e32 v56, v37, v22
	v_fmac_f32_e32 v42, v31, v24
	v_fma_f32 v31, v34, v20, -v46
	v_dual_add_f32 v34, v28, v30 :: v_dual_fmac_f32 v47, v35, v20
	v_fma_f32 v32, v36, v22, -v55
	v_fma_f32 v33, v38, v51, -v57
	v_add_f32_e32 v37, v29, v45
	v_add_f32_e32 v38, v45, v56
	v_sub_f32_e32 v36, v45, v56
	s_delay_alu instid0(VALU_DEP_4) | instskip(SKIP_4) | instid1(VALU_DEP_4)
	v_dual_add_f32 v35, v30, v32 :: v_dual_add_f32 v44, v31, v33
	v_dual_sub_f32 v30, v30, v32 :: v_dual_add_f32 v39, v41, v31
	v_dual_add_f32 v32, v34, v32 :: v_dual_sub_f32 v31, v31, v33
	v_add_f32_e32 v34, v37, v56
	v_fma_f32 v56, -0.5, v38, v29
	v_add_f32_e32 v33, v39, v33
	v_fma_f32 v55, -0.5, v35, v28
	v_fmac_f32_e32 v41, -0.5, v44
	s_delay_alu instid0(VALU_DEP_4) | instskip(SKIP_3) | instid1(VALU_DEP_1)
	v_fmamk_f32 v39, v30, 0xbf5db3d7, v56
	v_fmac_f32_e32 v56, 0x3f5db3d7, v30
	v_dual_sub_f32 v45, v47, v58 :: v_dual_add_f32 v46, v42, v47
	v_add_f32_e32 v47, v47, v58
	v_dual_add_f32 v35, v46, v58 :: v_dual_fmac_f32 v42, -0.5, v47
	v_fmamk_f32 v37, v36, 0x3f5db3d7, v55
	v_fmac_f32_e32 v55, 0xbf5db3d7, v36
	v_fmamk_f32 v36, v45, 0x3f5db3d7, v41
	s_delay_alu instid0(VALU_DEP_4) | instskip(SKIP_1) | instid1(VALU_DEP_3)
	v_dual_fmac_f32 v41, 0xbf5db3d7, v45 :: v_dual_fmamk_f32 v38, v31, 0xbf5db3d7, v42
	v_fmac_f32_e32 v42, 0x3f5db3d7, v31
	v_dual_add_f32 v29, v34, v35 :: v_dual_mul_f32 v46, 0xbf5db3d7, v36
	v_sub_f32_e32 v30, v32, v33
	s_delay_alu instid0(VALU_DEP_4) | instskip(NEXT) | instid1(VALU_DEP_4)
	v_dual_mul_f32 v44, 0x3f5db3d7, v38 :: v_dual_mul_f32 v45, -0.5, v41
	v_mul_f32_e32 v47, -0.5, v42
	s_delay_alu instid0(VALU_DEP_4) | instskip(SKIP_1) | instid1(VALU_DEP_4)
	v_fmac_f32_e32 v46, 0.5, v38
	v_add_f32_e32 v28, v32, v33
	v_dual_fmac_f32 v44, 0.5, v36 :: v_dual_fmac_f32 v45, 0x3f5db3d7, v42
	s_delay_alu instid0(VALU_DEP_4) | instskip(NEXT) | instid1(VALU_DEP_2)
	v_fmac_f32_e32 v47, 0xbf5db3d7, v41
	v_dual_add_f32 v33, v39, v46 :: v_dual_sub_f32 v36, v37, v44
	v_dual_add_f32 v32, v37, v44 :: v_dual_sub_f32 v31, v34, v35
	s_delay_alu instid0(VALU_DEP_3)
	v_dual_add_f32 v34, v55, v45 :: v_dual_add_f32 v35, v56, v47
	v_sub_f32_e32 v38, v55, v45
	v_sub_f32_e32 v37, v39, v46
	;; [unrolled: 1-line block ×3, first 2 shown]
	ds_store_2addr_b64 v65, v[28:29], v[32:33] offset1:39
	ds_store_2addr_b64 v65, v[34:35], v[30:31] offset0:78 offset1:117
	ds_store_2addr_b64 v65, v[36:37], v[38:39] offset0:156 offset1:195
	global_wb scope:SCOPE_SE
	s_wait_dscnt 0x0
	s_barrier_signal -1
	s_barrier_wait -1
	global_inv scope:SCOPE_SE
	s_clause 0x1
	global_load_b128 v[32:35], v43, s[4:5] offset:1768
	global_load_b128 v[28:31], v40, s[4:5] offset:1768
	ds_load_2addr_b64 v[36:39], v53 offset0:106 offset1:223
	ds_load_2addr_b64 v[44:47], v54 offset0:84 offset1:201
	ds_load_2addr_b64 v[40:43], v61 offset1:117
	s_wait_loadcnt_dscnt 0x101
	v_dual_mul_f32 v55, v37, v33 :: v_dual_mul_f32 v58, v44, v35
	v_dual_mul_f32 v56, v36, v33 :: v_dual_mul_f32 v57, v45, v35
	s_wait_loadcnt 0x0
	v_mul_f32_e32 v66, v39, v29
	v_dual_mul_f32 v67, v38, v29 :: v_dual_mul_f32 v68, v47, v31
	v_dual_mul_f32 v69, v46, v31 :: v_dual_fmac_f32 v58, v45, v34
	v_fma_f32 v36, v36, v32, -v55
	v_fmac_f32_e32 v56, v37, v32
	v_fma_f32 v37, v44, v34, -v57
	v_fma_f32 v38, v38, v28, -v66
	v_fmac_f32_e32 v67, v39, v28
	v_fma_f32 v39, v46, v30, -v68
	s_wait_dscnt 0x0
	v_dual_fmac_f32 v69, v47, v30 :: v_dual_add_f32 v44, v40, v36
	v_dual_add_f32 v45, v36, v37 :: v_dual_add_f32 v46, v41, v56
	s_delay_alu instid0(VALU_DEP_3)
	v_dual_sub_f32 v55, v56, v58 :: v_dual_add_f32 v66, v38, v39
	v_add_f32_e32 v47, v56, v58
	v_sub_f32_e32 v56, v36, v37
	v_dual_sub_f32 v68, v67, v69 :: v_dual_add_f32 v57, v42, v38
	v_add_f32_e32 v70, v43, v67
	v_add_f32_e32 v67, v67, v69
	v_dual_sub_f32 v71, v38, v39 :: v_dual_add_f32 v36, v44, v37
	v_fma_f32 v44, -0.5, v45, v40
	v_add_f32_e32 v37, v46, v58
	v_fma_f32 v45, -0.5, v47, v41
	v_add_f32_e32 v46, v57, v39
	v_fma_f32 v42, -0.5, v66, v42
	v_dual_fmamk_f32 v38, v55, 0x3f5db3d7, v44 :: v_dual_fmac_f32 v43, -0.5, v67
	v_dual_add_f32 v47, v70, v69 :: v_dual_fmac_f32 v44, 0xbf5db3d7, v55
	v_fmamk_f32 v39, v56, 0xbf5db3d7, v45
	s_delay_alu instid0(VALU_DEP_4) | instskip(NEXT) | instid1(VALU_DEP_4)
	v_dual_fmac_f32 v45, 0x3f5db3d7, v56 :: v_dual_fmamk_f32 v40, v68, 0x3f5db3d7, v42
	v_dual_fmac_f32 v42, 0xbf5db3d7, v68 :: v_dual_fmamk_f32 v41, v71, 0xbf5db3d7, v43
	v_fmac_f32_e32 v43, 0x3f5db3d7, v71
	ds_store_2addr_b64 v61, v[36:37], v[46:47] offset1:117
	ds_store_2addr_b64 v53, v[38:39], v[40:41] offset0:106 offset1:223
	ds_store_2addr_b64 v54, v[44:45], v[42:43] offset0:84 offset1:201
	global_wb scope:SCOPE_SE
	s_wait_dscnt 0x0
	s_barrier_signal -1
	s_barrier_wait -1
	global_inv scope:SCOPE_SE
	s_and_saveexec_b32 s6, vcc_lo
	s_cbranch_execz .LBB0_9
; %bb.8:
	global_load_b64 v[53:54], v59, s[8:9] offset:5616
	s_add_nc_u64 s[4:5], s[8:9], 0x15f0
	s_clause 0xb
	global_load_b64 v[57:58], v59, s[4:5] offset:432
	global_load_b64 v[86:87], v59, s[4:5] offset:864
	;; [unrolled: 1-line block ×12, first 2 shown]
	ds_load_b64 v[55:56], v61
	v_add_nc_u32_e32 v109, 0x800, v59
	v_add_nc_u32_e32 v110, 0xc00, v59
	s_wait_loadcnt_dscnt 0xc00
	v_mul_f32_e32 v66, v56, v54
	v_mul_f32_e32 v67, v55, v54
	s_delay_alu instid0(VALU_DEP_2) | instskip(NEXT) | instid1(VALU_DEP_2)
	v_fma_f32 v66, v55, v53, -v66
	v_fmac_f32_e32 v67, v56, v53
	ds_store_b64 v61, v[66:67]
	ds_load_2addr_b64 v[53:56], v59 offset0:54 offset1:108
	v_add_nc_u32_e32 v111, 0x1000, v59
	ds_load_2addr_b64 v[66:69], v59 offset0:162 offset1:216
	ds_load_2addr_b64 v[70:73], v109 offset0:14 offset1:68
	;; [unrolled: 1-line block ×3, first 2 shown]
	s_wait_loadcnt_dscnt 0xb03
	v_mul_f32_e32 v108, v53, v58
	ds_load_2addr_b64 v[78:81], v110 offset0:102 offset1:156
	ds_load_2addr_b64 v[82:85], v111 offset0:82 offset1:136
	s_wait_loadcnt 0xa
	v_dual_mul_f32 v112, v54, v58 :: v_dual_mul_f32 v113, v56, v87
	s_wait_loadcnt_dscnt 0x904
	v_mul_f32_e32 v114, v67, v89
	v_dual_mul_f32 v58, v55, v87 :: v_dual_mul_f32 v87, v66, v89
	s_wait_loadcnt_dscnt 0x703
	v_dual_mul_f32 v115, v69, v91 :: v_dual_mul_f32 v116, v71, v93
	s_wait_loadcnt_dscnt 0x502
	v_dual_mul_f32 v89, v68, v91 :: v_dual_mul_f32 v118, v75, v97
	v_dual_mul_f32 v91, v70, v93 :: v_dual_fmac_f32 v58, v56, v86
	v_mul_f32_e32 v117, v73, v95
	v_mul_f32_e32 v93, v72, v95
	;; [unrolled: 1-line block ×3, first 2 shown]
	s_wait_loadcnt 0x4
	v_dual_mul_f32 v119, v77, v99 :: v_dual_fmac_f32 v108, v54, v57
	v_mul_f32_e32 v97, v76, v99
	v_fmac_f32_e32 v87, v67, v88
	s_wait_loadcnt_dscnt 0x301
	v_mul_f32_e32 v120, v79, v101
	v_mul_f32_e32 v99, v78, v101
	s_wait_loadcnt 0x2
	v_mul_f32_e32 v121, v81, v103
	s_wait_loadcnt_dscnt 0x100
	v_dual_mul_f32 v101, v80, v103 :: v_dual_mul_f32 v122, v83, v105
	v_mul_f32_e32 v103, v82, v105
	s_wait_loadcnt 0x0
	v_mul_f32_e32 v123, v85, v107
	v_mul_f32_e32 v105, v84, v107
	v_fma_f32 v107, v53, v57, -v112
	v_fma_f32 v57, v55, v86, -v113
	;; [unrolled: 1-line block ×4, first 2 shown]
	v_fmac_f32_e32 v89, v69, v90
	v_fma_f32 v90, v70, v92, -v116
	v_fmac_f32_e32 v91, v71, v92
	v_fma_f32 v92, v72, v94, -v117
	v_fmac_f32_e32 v93, v73, v94
	v_fma_f32 v94, v74, v96, -v118
	v_fmac_f32_e32 v95, v75, v96
	v_fma_f32 v96, v76, v98, -v119
	v_fmac_f32_e32 v97, v77, v98
	v_fma_f32 v98, v78, v100, -v120
	v_fmac_f32_e32 v99, v79, v100
	v_fma_f32 v100, v80, v102, -v121
	v_fmac_f32_e32 v101, v81, v102
	v_fma_f32 v102, v82, v104, -v122
	v_fmac_f32_e32 v103, v83, v104
	v_fma_f32 v104, v84, v106, -v123
	v_fmac_f32_e32 v105, v85, v106
	ds_store_2addr_b64 v59, v[107:108], v[57:58] offset0:54 offset1:108
	ds_store_2addr_b64 v59, v[86:87], v[88:89] offset0:162 offset1:216
	;; [unrolled: 1-line block ×6, first 2 shown]
.LBB0_9:
	s_wait_alu 0xfffe
	s_or_b32 exec_lo, exec_lo, s6
	global_wb scope:SCOPE_SE
	s_wait_dscnt 0x0
	s_barrier_signal -1
	s_barrier_wait -1
	global_inv scope:SCOPE_SE
	s_and_saveexec_b32 s4, vcc_lo
	s_cbranch_execz .LBB0_11
; %bb.10:
	v_add_nc_u32_e32 v0, 0x400, v61
	v_add_nc_u32_e32 v1, 0x800, v61
	;; [unrolled: 1-line block ×3, first 2 shown]
	ds_load_2addr_b64 v[36:39], v61 offset1:54
	ds_load_2addr_b64 v[44:47], v61 offset0:108 offset1:162
	ds_load_2addr_b64 v[40:43], v0 offset0:88 offset1:142
	;; [unrolled: 1-line block ×5, first 2 shown]
	ds_load_b64 v[49:50], v61 offset:5184
.LBB0_11:
	s_wait_alu 0xfffe
	s_or_b32 exec_lo, exec_lo, s4
	global_wb scope:SCOPE_SE
	s_wait_dscnt 0x0
	s_barrier_signal -1
	s_barrier_wait -1
	global_inv scope:SCOPE_SE
	s_and_saveexec_b32 s4, vcc_lo
	s_cbranch_execz .LBB0_13
; %bb.12:
	v_dual_add_f32 v80, v50, v39 :: v_dual_sub_f32 v67, v44, v2
	v_dual_sub_f32 v70, v38, v49 :: v_dual_add_f32 v83, v1, v47
	v_dual_sub_f32 v68, v46, v0 :: v_dual_add_f32 v87, v5, v43
	s_delay_alu instid0(VALU_DEP_3) | instskip(SKIP_1) | instid1(VALU_DEP_4)
	v_dual_mul_f32 v84, 0xbf788fa5, v80 :: v_dual_add_f32 v85, v7, v41
	v_add_f32_e32 v82, v3, v45
	v_dual_mul_f32 v88, 0xbf3f9e67, v83 :: v_dual_add_f32 v71, v49, v38
	s_delay_alu instid0(VALU_DEP_3) | instskip(NEXT) | instid1(VALU_DEP_3)
	v_dual_fmamk_f32 v53, v70, 0x3e750f2a, v84 :: v_dual_sub_f32 v66, v40, v6
	v_dual_sub_f32 v69, v42, v4 :: v_dual_mul_f32 v86, 0x3f62ad3f, v82
	v_dual_sub_f32 v89, v39, v50 :: v_dual_mul_f32 v90, 0x3f116cb1, v85
	s_delay_alu instid0(VALU_DEP_3) | instskip(SKIP_1) | instid1(VALU_DEP_4)
	v_add_f32_e32 v53, v37, v53
	v_dual_fmamk_f32 v55, v68, 0x3f29c268, v88 :: v_dual_sub_f32 v96, v47, v1
	v_dual_fmamk_f32 v54, v67, 0xbeedf032, v86 :: v_dual_sub_f32 v91, v45, v3
	v_mul_f32_e32 v92, 0xbeb58ec6, v87
	v_mul_f32_e32 v93, 0xbe750f2a, v89
	v_add_f32_e32 v73, v2, v44
	s_delay_alu instid0(VALU_DEP_4) | instskip(SKIP_2) | instid1(VALU_DEP_3)
	v_add_f32_e32 v53, v54, v53
	v_fmamk_f32 v54, v66, 0xbf52af12, v90
	v_dual_mul_f32 v94, 0x3eedf032, v91 :: v_dual_add_f32 v95, v11, v9
	v_dual_add_f32 v74, v0, v46 :: v_dual_add_f32 v53, v55, v53
	v_fmamk_f32 v55, v69, 0x3f6f5d39, v92
	v_fmamk_f32 v56, v71, 0xbf788fa5, v93
	v_dual_mul_f32 v97, 0xbf29c268, v96 :: v_dual_sub_f32 v72, v8, v10
	s_delay_alu instid0(VALU_DEP_4) | instskip(NEXT) | instid1(VALU_DEP_3)
	v_dual_add_f32 v53, v54, v53 :: v_dual_fmamk_f32 v54, v73, 0x3f62ad3f, v94
	v_add_f32_e32 v56, v36, v56
	v_mul_f32_e32 v98, 0x3df6dbef, v95
	v_sub_f32_e32 v99, v41, v7
	s_delay_alu instid0(VALU_DEP_4) | instskip(SKIP_2) | instid1(VALU_DEP_4)
	v_add_f32_e32 v53, v55, v53
	v_dual_sub_f32 v101, v43, v5 :: v_dual_mul_f32 v102, 0xbf3f9e67, v80
	v_add_f32_e32 v54, v54, v56
	v_dual_add_f32 v75, v6, v40 :: v_dual_mul_f32 v100, 0x3f52af12, v99
	v_fmamk_f32 v56, v72, 0xbf7e222b, v98
	v_fmamk_f32 v55, v74, 0xbf3f9e67, v97
	v_dual_add_f32 v77, v4, v42 :: v_dual_add_f32 v76, v10, v8
	s_delay_alu instid0(VALU_DEP_4) | instskip(NEXT) | instid1(VALU_DEP_3)
	v_dual_fmamk_f32 v57, v75, 0x3f116cb1, v100 :: v_dual_sub_f32 v104, v9, v11
	v_add_f32_e32 v55, v55, v54
	v_mul_f32_e32 v103, 0xbf6f5d39, v101
	v_add_f32_e32 v54, v56, v53
	v_mul_f32_e32 v108, 0xbf29c268, v89
	s_delay_alu instid0(VALU_DEP_4) | instskip(SKIP_3) | instid1(VALU_DEP_3)
	v_dual_mul_f32 v106, 0x3f7e222b, v104 :: v_dual_add_f32 v53, v57, v55
	v_dual_fmamk_f32 v55, v70, 0x3f29c268, v102 :: v_dual_mul_f32 v122, 0x3f29c268, v91
	v_dual_fmamk_f32 v56, v77, 0xbeb58ec6, v103 :: v_dual_mul_f32 v113, 0xbeb58ec6, v95
	v_mul_f32_e32 v105, 0x3df6dbef, v82
	v_add_f32_e32 v55, v37, v55
	s_delay_alu instid0(VALU_DEP_3) | instskip(SKIP_2) | instid1(VALU_DEP_3)
	v_dual_mul_f32 v110, 0x3f7e222b, v91 :: v_dual_add_f32 v53, v56, v53
	v_dual_fmamk_f32 v56, v76, 0x3df6dbef, v106 :: v_dual_mul_f32 v121, 0x3df6dbef, v85
	v_mul_f32_e32 v119, 0x3f62ad3f, v83
	v_fmamk_f32 v58, v73, 0x3df6dbef, v110
	s_delay_alu instid0(VALU_DEP_3) | instskip(SKIP_4) | instid1(VALU_DEP_4)
	v_dual_mul_f32 v112, 0xbf52af12, v96 :: v_dual_add_f32 v53, v56, v53
	v_fmamk_f32 v56, v71, 0xbf3f9e67, v108
	v_mul_f32_e32 v107, 0x3f116cb1, v83
	v_fmamk_f32 v79, v68, 0xbeedf032, v119
	v_dual_mul_f32 v117, 0xbf3f9e67, v82 :: v_dual_mul_f32 v138, 0xbf3f9e67, v95
	v_dual_add_f32 v56, v36, v56 :: v_dual_fmamk_f32 v57, v67, 0xbf7e222b, v105
	v_mul_f32_e32 v134, 0xbe750f2a, v91
	v_mul_f32_e32 v116, 0x3eedf032, v101
	s_delay_alu instid0(VALU_DEP_3) | instskip(NEXT) | instid1(VALU_DEP_4)
	v_dual_mul_f32 v111, 0x3f62ad3f, v87 :: v_dual_add_f32 v56, v58, v56
	v_dual_add_f32 v55, v57, v55 :: v_dual_fmamk_f32 v58, v74, 0x3f116cb1, v112
	v_fmamk_f32 v57, v68, 0x3f52af12, v107
	v_dual_mul_f32 v129, 0xbf788fa5, v82 :: v_dual_fmamk_f32 v136, v73, 0xbf788fa5, v134
	v_mul_f32_e32 v128, 0x3e750f2a, v101
	s_delay_alu instid0(VALU_DEP_4) | instskip(SKIP_4) | instid1(VALU_DEP_4)
	v_add_f32_e32 v58, v58, v56
	v_mul_f32_e32 v114, 0x3e750f2a, v99
	v_mul_f32_e32 v109, 0xbf788fa5, v85
	v_dual_add_f32 v55, v57, v55 :: v_dual_mul_f32 v118, 0xbf6f5d39, v104
	v_fmamk_f32 v81, v67, 0x3e750f2a, v129
	v_fmamk_f32 v78, v75, 0xbf788fa5, v114
	s_delay_alu instid0(VALU_DEP_4)
	v_fmamk_f32 v57, v66, 0xbe750f2a, v109
	v_mul_f32_e32 v123, 0xbf788fa5, v87
	v_mul_f32_e32 v125, 0x3f116cb1, v95
	;; [unrolled: 1-line block ×4, first 2 shown]
	v_add_f32_e32 v55, v57, v55
	v_fmamk_f32 v57, v69, 0xbeedf032, v111
	v_mul_f32_e32 v137, 0x3f6f5d39, v96
	v_mul_f32_e32 v151, 0xbe750f2a, v96
	;; [unrolled: 1-line block ×3, first 2 shown]
	s_delay_alu instid0(VALU_DEP_4)
	v_dual_fmamk_f32 v144, v67, 0x3f6f5d39, v143 :: v_dual_add_f32 v55, v57, v55
	v_fmamk_f32 v57, v72, 0x3f6f5d39, v113
	v_mul_f32_e32 v115, 0xbeb58ec6, v80
	v_mul_f32_e32 v131, 0xbeb58ec6, v83
	;; [unrolled: 1-line block ×4, first 2 shown]
	s_delay_alu instid0(VALU_DEP_4) | instskip(SKIP_3) | instid1(VALU_DEP_4)
	v_dual_add_f32 v56, v57, v55 :: v_dual_fmamk_f32 v55, v70, 0x3f6f5d39, v115
	v_dual_add_f32 v57, v78, v58 :: v_dual_fmamk_f32 v58, v77, 0x3f62ad3f, v116
	v_fmamk_f32 v78, v67, 0xbf29c268, v117
	v_mul_f32_e32 v139, 0x3eedf032, v99
	v_add_f32_e32 v55, v37, v55
	v_fmamk_f32 v147, v68, 0x3e750f2a, v145
	v_dual_add_f32 v57, v58, v57 :: v_dual_fmamk_f32 v58, v76, 0xbeb58ec6, v118
	s_delay_alu instid0(VALU_DEP_3) | instskip(SKIP_1) | instid1(VALU_DEP_3)
	v_dual_mul_f32 v133, 0x3f62ad3f, v85 :: v_dual_add_f32 v78, v78, v55
	v_dual_fmamk_f32 v141, v75, 0x3f62ad3f, v139 :: v_dual_mul_f32 v152, 0x3f62ad3f, v95
	v_add_f32_e32 v55, v58, v57
	v_mul_f32_e32 v142, 0xbf52af12, v101
	s_delay_alu instid0(VALU_DEP_4)
	v_add_f32_e32 v58, v79, v78
	v_fmamk_f32 v78, v66, 0x3f7e222b, v121
	v_fmamk_f32 v79, v73, 0xbf3f9e67, v122
	v_mul_f32_e32 v135, 0x3f116cb1, v87
	v_mul_f32_e32 v132, 0xbf7e222b, v89
	v_dual_mul_f32 v83, 0x3df6dbef, v83 :: v_dual_add_f32 v38, v38, v36
	v_add_f32_e32 v58, v78, v58
	v_fmamk_f32 v78, v69, 0xbe750f2a, v123
	v_mul_f32_e32 v153, 0x3f29c268, v99
	v_mul_f32_e32 v148, 0xbf3f9e67, v85
	;; [unrolled: 1-line block ×3, first 2 shown]
	v_fmac_f32_e32 v115, 0xbf6f5d39, v70
	v_add_f32_e32 v58, v78, v58
	v_fmamk_f32 v78, v72, 0xbf52af12, v125
	v_fmac_f32_e32 v109, 0x3e750f2a, v66
	v_mul_f32_e32 v126, 0xbf7e222b, v99
	v_mul_f32_e32 v140, 0x3f116cb1, v80
	v_mul_f32_e32 v146, 0xbf52af12, v89
	v_add_f32_e32 v58, v78, v58
	v_fmamk_f32 v78, v70, 0x3f7e222b, v127
	v_add_f32_e32 v38, v44, v38
	v_mul_f32_e32 v82, 0x3f116cb1, v82
	v_mul_f32_e32 v154, 0x3f62ad3f, v80
	;; [unrolled: 1-line block ×3, first 2 shown]
	v_add_f32_e32 v78, v37, v78
	v_add_f32_e32 v38, v46, v38
	v_fmamk_f32 v156, v67, 0x3f52af12, v82
	v_dual_add_f32 v39, v39, v37 :: v_dual_fmac_f32 v84, 0xbe750f2a, v70
	s_delay_alu instid0(VALU_DEP_4) | instskip(NEXT) | instid1(VALU_DEP_4)
	v_dual_add_f32 v78, v81, v78 :: v_dual_fmamk_f32 v81, v68, 0xbf6f5d39, v131
	v_dual_fmamk_f32 v57, v71, 0xbeb58ec6, v120 :: v_dual_add_f32 v38, v40, v38
	s_delay_alu instid0(VALU_DEP_3) | instskip(SKIP_1) | instid1(VALU_DEP_3)
	v_add_f32_e32 v39, v45, v39
	v_fmac_f32_e32 v86, 0x3eedf032, v67
	v_dual_add_f32 v78, v81, v78 :: v_dual_add_f32 v57, v36, v57
	v_fmamk_f32 v81, v66, 0xbeedf032, v133
	s_delay_alu instid0(VALU_DEP_4) | instskip(SKIP_1) | instid1(VALU_DEP_3)
	v_dual_add_f32 v39, v47, v39 :: v_dual_add_f32 v38, v42, v38
	v_fma_f32 v42, 0x3df6dbef, v75, -v126
	v_dual_add_f32 v57, v79, v57 :: v_dual_add_f32 v78, v81, v78
	v_fmamk_f32 v81, v69, 0x3f52af12, v135
	v_fmamk_f32 v79, v74, 0x3f62ad3f, v124
	v_add_f32_e32 v39, v41, v39
	v_dual_fmamk_f32 v41, v71, 0x3f62ad3f, v44 :: v_dual_add_f32 v8, v8, v38
	s_delay_alu instid0(VALU_DEP_3) | instskip(SKIP_2) | instid1(VALU_DEP_4)
	v_dual_add_f32 v78, v81, v78 :: v_dual_add_f32 v57, v79, v57
	v_fmamk_f32 v79, v75, 0x3df6dbef, v126
	v_fmamk_f32 v81, v72, 0x3f29c268, v138
	v_add_f32_e32 v40, v36, v41
	v_mul_f32_e32 v38, 0xbf6f5d39, v99
	s_delay_alu instid0(VALU_DEP_4) | instskip(SKIP_2) | instid1(VALU_DEP_4)
	v_dual_add_f32 v8, v10, v8 :: v_dual_add_f32 v57, v79, v57
	v_fmamk_f32 v79, v77, 0xbf788fa5, v128
	v_mul_f32_e32 v130, 0x3f52af12, v104
	v_fmamk_f32 v10, v75, 0xbeb58ec6, v38
	v_add_f32_e32 v39, v43, v39
	v_mul_f32_e32 v43, 0xbf7e222b, v96
	v_add_f32_e32 v57, v79, v57
	v_fmamk_f32 v79, v76, 0x3f116cb1, v130
	v_add_f32_e32 v4, v4, v8
	v_fma_f32 v44, 0x3f62ad3f, v71, -v44
	v_fmac_f32_e32 v102, 0xbf29c268, v70
	s_delay_alu instid0(VALU_DEP_4) | instskip(NEXT) | instid1(VALU_DEP_4)
	v_dual_fmac_f32 v90, 0x3f52af12, v66 :: v_dual_add_f32 v57, v79, v57
	v_dual_fmamk_f32 v79, v71, 0x3df6dbef, v132 :: v_dual_add_f32 v4, v6, v4
	v_fmac_f32_e32 v88, 0xbf29c268, v68
	v_fmac_f32_e32 v92, 0xbf6f5d39, v69
	s_delay_alu instid0(VALU_DEP_3) | instskip(NEXT) | instid1(VALU_DEP_4)
	v_dual_fmac_f32 v98, 0x3f7e222b, v72 :: v_dual_add_f32 v79, v36, v79
	v_add_f32_e32 v0, v0, v4
	v_fmac_f32_e32 v138, 0xbf29c268, v72
	v_fmac_f32_e32 v125, 0x3f52af12, v72
	;; [unrolled: 1-line block ×3, first 2 shown]
	v_dual_add_f32 v79, v136, v79 :: v_dual_fmamk_f32 v136, v74, 0xbeb58ec6, v137
	v_add_f32_e32 v0, v2, v0
	s_delay_alu instid0(VALU_DEP_2) | instskip(SKIP_1) | instid1(VALU_DEP_3)
	v_dual_fmac_f32 v131, 0x3f6f5d39, v68 :: v_dual_add_f32 v136, v136, v79
	v_dual_add_f32 v79, v81, v78 :: v_dual_fmamk_f32 v78, v70, 0x3f52af12, v140
	v_dual_add_f32 v0, v49, v0 :: v_dual_fmac_f32 v127, 0xbf7e222b, v70
	s_delay_alu instid0(VALU_DEP_3) | instskip(SKIP_1) | instid1(VALU_DEP_4)
	v_add_f32_e32 v81, v141, v136
	v_fmamk_f32 v136, v77, 0x3f116cb1, v142
	v_dual_mul_f32 v141, 0xbf29c268, v104 :: v_dual_add_f32 v78, v37, v78
	v_fmac_f32_e32 v123, 0x3e750f2a, v69
	s_delay_alu instid0(VALU_DEP_3) | instskip(NEXT) | instid1(VALU_DEP_3)
	v_dual_fmac_f32 v140, 0xbf52af12, v70 :: v_dual_add_f32 v81, v136, v81
	v_fmamk_f32 v136, v76, 0xbf3f9e67, v141
	s_delay_alu instid0(VALU_DEP_4) | instskip(NEXT) | instid1(VALU_DEP_2)
	v_add_f32_e32 v144, v144, v78
	v_add_f32_e32 v78, v136, v81
	v_mul_f32_e32 v136, 0xbf6f5d39, v91
	v_fmamk_f32 v81, v71, 0x3f116cb1, v146
	s_delay_alu instid0(VALU_DEP_4) | instskip(SKIP_1) | instid1(VALU_DEP_3)
	v_dual_add_f32 v144, v147, v144 :: v_dual_fmamk_f32 v147, v66, 0xbf29c268, v148
	v_fmac_f32_e32 v133, 0x3eedf032, v66
	v_dual_fmamk_f32 v150, v73, 0xbeb58ec6, v136 :: v_dual_add_f32 v81, v36, v81
	s_delay_alu instid0(VALU_DEP_1) | instskip(SKIP_1) | instid1(VALU_DEP_1)
	v_dual_add_f32 v144, v147, v144 :: v_dual_add_f32 v81, v150, v81
	v_fmamk_f32 v150, v74, 0xbf788fa5, v151
	v_add_f32_e32 v80, v150, v81
	v_fmamk_f32 v150, v75, 0xbf3f9e67, v153
	s_delay_alu instid0(VALU_DEP_1) | instskip(SKIP_2) | instid1(VALU_DEP_3)
	v_dual_add_f32 v80, v150, v80 :: v_dual_mul_f32 v149, 0x3df6dbef, v87
	v_mul_f32_e32 v150, 0x3eedf032, v104
	v_mul_f32_e32 v87, 0xbf3f9e67, v87
	v_fmamk_f32 v147, v69, 0xbf7e222b, v149
	s_delay_alu instid0(VALU_DEP_2) | instskip(SKIP_1) | instid1(VALU_DEP_3)
	v_fmamk_f32 v47, v69, 0x3f29c268, v87
	v_mul_f32_e32 v46, 0xbf52af12, v91
	v_dual_fmac_f32 v87, 0xbf29c268, v69 :: v_dual_add_f32 v144, v147, v144
	v_fmamk_f32 v147, v72, 0xbeedf032, v152
	v_fmac_f32_e32 v152, 0x3eedf032, v72
	s_delay_alu instid0(VALU_DEP_4) | instskip(SKIP_1) | instid1(VALU_DEP_4)
	v_fmamk_f32 v41, v73, 0x3f116cb1, v46
	v_mul_f32_e32 v85, 0xbeb58ec6, v85
	v_dual_add_f32 v81, v147, v144 :: v_dual_fmamk_f32 v144, v70, 0x3eedf032, v154
	s_delay_alu instid0(VALU_DEP_3) | instskip(SKIP_2) | instid1(VALU_DEP_4)
	v_dual_add_f32 v40, v41, v40 :: v_dual_fmamk_f32 v41, v74, 0x3df6dbef, v43
	v_fmac_f32_e32 v148, 0x3f29c268, v66
	v_fmac_f32_e32 v154, 0xbeedf032, v70
	v_add_f32_e32 v144, v37, v144
	s_delay_alu instid0(VALU_DEP_4) | instskip(NEXT) | instid1(VALU_DEP_2)
	v_add_f32_e32 v40, v41, v40
	v_add_f32_e32 v144, v156, v144
	v_fmamk_f32 v156, v68, 0x3f7e222b, v83
	s_delay_alu instid0(VALU_DEP_3) | instskip(SKIP_1) | instid1(VALU_DEP_3)
	v_dual_fmamk_f32 v147, v77, 0x3df6dbef, v155 :: v_dual_add_f32 v8, v10, v40
	v_dual_add_f32 v9, v9, v39 :: v_dual_mul_f32 v40, 0xbe750f2a, v104
	v_dual_add_f32 v45, v156, v144 :: v_dual_fmamk_f32 v144, v66, 0x3f6f5d39, v85
	s_delay_alu instid0(VALU_DEP_3) | instskip(NEXT) | instid1(VALU_DEP_3)
	v_dual_add_f32 v80, v147, v80 :: v_dual_fmamk_f32 v147, v76, 0x3f62ad3f, v150
	v_add_f32_e32 v9, v11, v9
	v_fma_f32 v10, 0x3df6dbef, v73, -v110
	s_delay_alu instid0(VALU_DEP_4) | instskip(NEXT) | instid1(VALU_DEP_4)
	v_add_f32_e32 v45, v144, v45
	v_dual_fmac_f32 v85, 0xbf6f5d39, v66 :: v_dual_add_f32 v80, v147, v80
	s_delay_alu instid0(VALU_DEP_4) | instskip(SKIP_1) | instid1(VALU_DEP_4)
	v_add_f32_e32 v9, v5, v9
	v_fma_f32 v38, 0xbeb58ec6, v75, -v38
	v_add_f32_e32 v45, v47, v45
	v_fmac_f32_e32 v149, 0x3f7e222b, v69
	v_fma_f32 v47, 0xbf788fa5, v73, -v134
	v_add_f32_e32 v7, v7, v9
	s_delay_alu instid0(VALU_DEP_1) | instskip(SKIP_2) | instid1(VALU_DEP_3)
	v_add_f32_e32 v1, v1, v7
	v_fmamk_f32 v7, v76, 0xbf788fa5, v40
	v_fma_f32 v40, 0xbf788fa5, v76, -v40
	v_add_f32_e32 v1, v3, v1
	v_add_f32_e32 v3, v37, v84
	s_delay_alu instid0(VALU_DEP_1) | instskip(NEXT) | instid1(VALU_DEP_1)
	v_dual_mul_f32 v41, 0xbf29c268, v101 :: v_dual_add_f32 v2, v86, v3
	v_fmamk_f32 v9, v77, 0xbf3f9e67, v41
	s_delay_alu instid0(VALU_DEP_2) | instskip(NEXT) | instid1(VALU_DEP_1)
	v_dual_mul_f32 v39, 0xbf788fa5, v95 :: v_dual_add_f32 v2, v88, v2
	v_dual_add_f32 v6, v9, v8 :: v_dual_fmamk_f32 v11, v72, 0x3e750f2a, v39
	v_fma_f32 v8, 0xbeb58ec6, v77, -v103
	s_delay_alu instid0(VALU_DEP_3) | instskip(NEXT) | instid1(VALU_DEP_3)
	v_dual_fmac_f32 v39, 0xbe750f2a, v72 :: v_dual_add_f32 v2, v90, v2
	v_add_f32_e32 v4, v7, v6
	s_delay_alu instid0(VALU_DEP_4) | instskip(SKIP_1) | instid1(VALU_DEP_4)
	v_add_f32_e32 v5, v11, v45
	v_fma_f32 v6, 0xbf788fa5, v71, -v93
	v_dual_add_f32 v1, v50, v1 :: v_dual_add_f32 v2, v92, v2
	v_fma_f32 v11, 0xbf3f9e67, v73, -v122
	v_fmac_f32_e32 v117, 0x3f29c268, v67
	s_delay_alu instid0(VALU_DEP_4) | instskip(SKIP_3) | instid1(VALU_DEP_3)
	v_add_f32_e32 v3, v36, v6
	v_fma_f32 v6, 0x3f62ad3f, v73, -v94
	v_fma_f32 v43, 0x3df6dbef, v74, -v43
	;; [unrolled: 1-line block ×3, first 2 shown]
	v_add_f32_e32 v3, v6, v3
	v_fma_f32 v6, 0xbf3f9e67, v74, -v97
	s_delay_alu instid0(VALU_DEP_1) | instskip(SKIP_1) | instid1(VALU_DEP_1)
	v_add_f32_e32 v3, v6, v3
	v_fma_f32 v6, 0x3f116cb1, v75, -v100
	v_dual_add_f32 v7, v37, v102 :: v_dual_add_f32 v6, v6, v3
	v_add_f32_e32 v3, v98, v2
	v_fma_f32 v2, 0xbf3f9e67, v71, -v108
	s_delay_alu instid0(VALU_DEP_3) | instskip(SKIP_1) | instid1(VALU_DEP_3)
	v_dual_fmac_f32 v105, 0x3f7e222b, v67 :: v_dual_add_f32 v6, v8, v6
	v_fma_f32 v8, 0x3df6dbef, v76, -v106
	v_add_f32_e32 v9, v36, v2
	s_delay_alu instid0(VALU_DEP_2) | instskip(NEXT) | instid1(VALU_DEP_2)
	v_dual_add_f32 v7, v105, v7 :: v_dual_add_f32 v2, v8, v6
	v_add_f32_e32 v8, v10, v9
	v_dual_add_f32 v10, v37, v115 :: v_dual_fmac_f32 v111, 0x3eedf032, v69
	v_fma_f32 v9, 0x3f116cb1, v74, -v112
	s_delay_alu instid0(VALU_DEP_2) | instskip(NEXT) | instid1(VALU_DEP_2)
	v_dual_add_f32 v10, v117, v10 :: v_dual_fmac_f32 v107, 0xbf52af12, v68
	v_add_f32_e32 v8, v9, v8
	v_fma_f32 v9, 0xbf788fa5, v75, -v114
	s_delay_alu instid0(VALU_DEP_1) | instskip(SKIP_1) | instid1(VALU_DEP_2)
	v_dual_add_f32 v7, v107, v7 :: v_dual_add_f32 v8, v9, v8
	v_fma_f32 v9, 0x3f62ad3f, v77, -v116
	v_add_f32_e32 v7, v109, v7
	s_delay_alu instid0(VALU_DEP_2) | instskip(SKIP_1) | instid1(VALU_DEP_3)
	v_add_f32_e32 v8, v9, v8
	v_fma_f32 v9, 0xbeb58ec6, v76, -v118
	v_dual_add_f32 v6, v111, v7 :: v_dual_fmac_f32 v121, 0xbf7e222b, v66
	v_fmac_f32_e32 v119, 0x3eedf032, v68
	s_delay_alu instid0(VALU_DEP_1) | instskip(NEXT) | instid1(VALU_DEP_1)
	v_dual_fmac_f32 v113, 0xbf6f5d39, v72 :: v_dual_add_f32 v10, v119, v10
	v_add_f32_e32 v7, v113, v6
	v_fma_f32 v6, 0xbeb58ec6, v71, -v120
	s_delay_alu instid0(VALU_DEP_1) | instskip(NEXT) | instid1(VALU_DEP_1)
	v_add_f32_e32 v6, v36, v6
	v_add_f32_e32 v6, v11, v6
	v_fma_f32 v11, 0x3f62ad3f, v74, -v124
	s_delay_alu instid0(VALU_DEP_1) | instskip(SKIP_1) | instid1(VALU_DEP_1)
	v_dual_add_f32 v11, v11, v6 :: v_dual_add_f32 v6, v9, v8
	v_add_f32_e32 v10, v121, v10
	v_add_f32_e32 v8, v123, v10
	s_delay_alu instid0(VALU_DEP_3) | instskip(SKIP_2) | instid1(VALU_DEP_2)
	v_add_f32_e32 v10, v42, v11
	v_fma_f32 v11, 0xbf788fa5, v77, -v128
	v_add_f32_e32 v42, v37, v127
	v_dual_fmac_f32 v129, 0xbe750f2a, v67 :: v_dual_add_f32 v10, v11, v10
	v_fma_f32 v11, 0x3f116cb1, v76, -v130
	v_add_f32_e32 v9, v125, v8
	v_fma_f32 v8, 0x3df6dbef, v71, -v132
	s_delay_alu instid0(VALU_DEP_1) | instskip(NEXT) | instid1(VALU_DEP_4)
	v_dual_add_f32 v42, v129, v42 :: v_dual_add_f32 v45, v36, v8
	v_add_f32_e32 v8, v11, v10
	s_delay_alu instid0(VALU_DEP_2) | instskip(SKIP_1) | instid1(VALU_DEP_4)
	v_add_f32_e32 v10, v131, v42
	v_fma_f32 v42, 0xbeb58ec6, v74, -v137
	v_add_f32_e32 v11, v47, v45
	v_add_f32_e32 v45, v37, v140
	s_delay_alu instid0(VALU_DEP_4) | instskip(SKIP_1) | instid1(VALU_DEP_4)
	v_add_f32_e32 v10, v133, v10
	v_fma_f32 v47, 0x3f116cb1, v77, -v142
	v_add_f32_e32 v11, v42, v11
	v_fma_f32 v42, 0x3f62ad3f, v75, -v139
	s_delay_alu instid0(VALU_DEP_1) | instskip(NEXT) | instid1(VALU_DEP_1)
	v_dual_add_f32 v42, v42, v11 :: v_dual_fmac_f32 v135, 0xbf52af12, v69
	v_dual_add_f32 v42, v47, v42 :: v_dual_fmac_f32 v143, 0xbf6f5d39, v67
	s_delay_alu instid0(VALU_DEP_2) | instskip(SKIP_2) | instid1(VALU_DEP_4)
	v_add_f32_e32 v10, v135, v10
	v_fma_f32 v47, 0xbf3f9e67, v76, -v141
	v_fmac_f32_e32 v145, 0xbe750f2a, v68
	v_add_f32_e32 v45, v143, v45
	s_delay_alu instid0(VALU_DEP_4) | instskip(SKIP_1) | instid1(VALU_DEP_1)
	v_add_f32_e32 v11, v138, v10
	v_fma_f32 v10, 0x3f116cb1, v71, -v146
	v_add_f32_e32 v49, v36, v10
	v_add_f32_e32 v36, v36, v44
	v_fma_f32 v44, 0x3f116cb1, v73, -v46
	v_dual_add_f32 v10, v47, v42 :: v_dual_add_f32 v45, v145, v45
	v_fma_f32 v47, 0xbf788fa5, v74, -v151
	v_fma_f32 v46, 0xbf3f9e67, v75, -v153
	s_delay_alu instid0(VALU_DEP_4) | instskip(NEXT) | instid1(VALU_DEP_1)
	v_add_f32_e32 v36, v44, v36
	v_dual_add_f32 v45, v148, v45 :: v_dual_add_f32 v36, v43, v36
	s_delay_alu instid0(VALU_DEP_1) | instskip(NEXT) | instid1(VALU_DEP_2)
	v_add_f32_e32 v36, v38, v36
	v_add_f32_e32 v42, v149, v45
	;; [unrolled: 1-line block ×3, first 2 shown]
	v_fma_f32 v38, 0xbf3f9e67, v77, -v41
	v_add_f32_e32 v37, v37, v154
	v_fma_f32 v41, 0x3f62ad3f, v76, -v150
	s_delay_alu instid0(VALU_DEP_3) | instskip(NEXT) | instid1(VALU_DEP_1)
	v_dual_add_f32 v45, v47, v45 :: v_dual_add_f32 v38, v38, v36
	v_add_f32_e32 v44, v46, v45
	v_fma_f32 v45, 0x3df6dbef, v77, -v155
	s_delay_alu instid0(VALU_DEP_1) | instskip(SKIP_1) | instid1(VALU_DEP_2)
	v_dual_add_f32 v38, v40, v38 :: v_dual_add_f32 v43, v45, v44
	v_dual_add_f32 v37, v82, v37 :: v_dual_and_b32 v44, 0xffff, v62
	v_dual_fmac_f32 v83, 0xbf7e222b, v68 :: v_dual_add_f32 v36, v41, v43
	s_delay_alu instid0(VALU_DEP_1) | instskip(NEXT) | instid1(VALU_DEP_1)
	v_dual_add_f32 v37, v83, v37 :: v_dual_lshlrev_b32 v44, 3, v44
	v_add_f32_e32 v37, v85, v37
	s_delay_alu instid0(VALU_DEP_1) | instskip(SKIP_1) | instid1(VALU_DEP_2)
	v_add_f32_e32 v45, v87, v37
	v_add_f32_e32 v37, v152, v42
	;; [unrolled: 1-line block ×3, first 2 shown]
	ds_store_2addr_b64 v44, v[0:1], v[4:5] offset1:1
	ds_store_2addr_b64 v44, v[80:81], v[78:79] offset0:2 offset1:3
	ds_store_2addr_b64 v44, v[57:58], v[55:56] offset0:4 offset1:5
	;; [unrolled: 1-line block ×5, first 2 shown]
	ds_store_b64 v44, v[38:39] offset:96
.LBB0_13:
	s_wait_alu 0xfffe
	s_or_b32 exec_lo, exec_lo, s4
	v_add_nc_u32_e32 v36, 0x400, v61
	v_add_nc_u32_e32 v37, 0xc00, v61
	global_wb scope:SCOPE_SE
	s_wait_dscnt 0x0
	s_barrier_signal -1
	s_barrier_wait -1
	global_inv scope:SCOPE_SE
	ds_load_2addr_b64 v[0:3], v36 offset0:106 offset1:223
	ds_load_2addr_b64 v[4:7], v37 offset0:84 offset1:201
	ds_load_2addr_b64 v[8:11], v61 offset1:117
	global_wb scope:SCOPE_SE
	s_wait_dscnt 0x0
	s_barrier_signal -1
	s_barrier_wait -1
	global_inv scope:SCOPE_SE
	v_mul_f32_e32 v40, v13, v3
	v_mul_f32_e32 v38, v17, v1
	;; [unrolled: 1-line block ×5, first 2 shown]
	v_dual_mul_f32 v41, v15, v7 :: v_dual_fmac_f32 v40, v12, v2
	v_fmac_f32_e32 v38, v16, v0
	v_fma_f32 v0, v16, v1, -v17
	v_mul_f32_e32 v15, v15, v6
	v_fma_f32 v1, v18, v5, -v19
	v_fmac_f32_e32 v39, v18, v4
	s_delay_alu instid0(VALU_DEP_1) | instskip(NEXT) | instid1(VALU_DEP_1)
	v_dual_mul_f32 v13, v13, v2 :: v_dual_add_f32 v4, v38, v39
	v_fma_f32 v2, v12, v3, -v13
	v_add_f32_e32 v3, v8, v38
	v_dual_fmac_f32 v41, v14, v6 :: v_dual_add_f32 v6, v9, v0
	v_fma_f32 v7, v14, v7, -v15
	v_add_f32_e32 v12, v0, v1
	v_dual_sub_f32 v5, v0, v1 :: v_dual_add_f32 v14, v10, v40
	v_add_f32_e32 v0, v3, v39
	s_delay_alu instid0(VALU_DEP_4)
	v_dual_sub_f32 v16, v2, v7 :: v_dual_add_f32 v15, v40, v41
	v_dual_add_f32 v18, v2, v7 :: v_dual_add_f32 v17, v11, v2
	v_fma_f32 v2, -0.5, v4, v8
	v_sub_f32_e32 v13, v38, v39
	v_fma_f32 v3, -0.5, v12, v9
	v_fma_f32 v10, -0.5, v15, v10
	v_dual_fmac_f32 v11, -0.5, v18 :: v_dual_sub_f32 v12, v40, v41
	v_dual_add_f32 v1, v6, v1 :: v_dual_fmamk_f32 v4, v5, 0xbf5db3d7, v2
	s_delay_alu instid0(VALU_DEP_3)
	v_fmamk_f32 v8, v16, 0xbf5db3d7, v10
	v_dual_fmac_f32 v2, 0x3f5db3d7, v5 :: v_dual_fmamk_f32 v5, v13, 0x3f5db3d7, v3
	v_add_f32_e32 v6, v14, v41
	v_fmac_f32_e32 v3, 0xbf5db3d7, v13
	v_dual_fmac_f32 v10, 0x3f5db3d7, v16 :: v_dual_add_f32 v7, v17, v7
	v_fmamk_f32 v9, v12, 0x3f5db3d7, v11
	v_fmac_f32_e32 v11, 0xbf5db3d7, v12
	ds_store_2addr_b64 v64, v[0:1], v[4:5] offset1:13
	ds_store_b64 v64, v[2:3] offset:208
	ds_store_2addr_b64 v63, v[6:7], v[8:9] offset1:13
	ds_store_b64 v63, v[10:11] offset:208
	global_wb scope:SCOPE_SE
	s_wait_dscnt 0x0
	s_barrier_signal -1
	s_barrier_wait -1
	global_inv scope:SCOPE_SE
	ds_load_2addr_b64 v[0:3], v61 offset1:117
	ds_load_2addr_b64 v[4:7], v36 offset0:106 offset1:223
	ds_load_2addr_b64 v[8:11], v37 offset0:84 offset1:201
	global_wb scope:SCOPE_SE
	s_wait_dscnt 0x0
	s_barrier_signal -1
	s_barrier_wait -1
	global_inv scope:SCOPE_SE
	v_mul_f32_e32 v12, v25, v3
	v_dual_mul_f32 v14, v27, v5 :: v_dual_mul_f32 v13, v25, v2
	v_dual_mul_f32 v15, v27, v4 :: v_dual_mul_f32 v16, v21, v7
	s_delay_alu instid0(VALU_DEP_3) | instskip(NEXT) | instid1(VALU_DEP_3)
	v_fmac_f32_e32 v12, v24, v2
	v_fmac_f32_e32 v14, v26, v4
	s_delay_alu instid0(VALU_DEP_4) | instskip(NEXT) | instid1(VALU_DEP_4)
	v_fma_f32 v2, v24, v3, -v13
	v_dual_mul_f32 v3, v23, v9 :: v_dual_fmac_f32 v16, v20, v6
	v_fma_f32 v4, v26, v5, -v15
	v_dual_mul_f32 v5, v21, v6 :: v_dual_mul_f32 v6, v23, v8
	s_delay_alu instid0(VALU_DEP_3) | instskip(NEXT) | instid1(VALU_DEP_2)
	v_dual_fmac_f32 v3, v22, v8 :: v_dual_mul_f32 v8, v52, v11
	v_fma_f32 v5, v20, v7, -v5
	v_mul_f32_e32 v7, v52, v10
	s_delay_alu instid0(VALU_DEP_4) | instskip(NEXT) | instid1(VALU_DEP_4)
	v_fma_f32 v6, v22, v9, -v6
	v_dual_add_f32 v9, v14, v3 :: v_dual_fmac_f32 v8, v51, v10
	v_add_f32_e32 v10, v0, v14
	s_delay_alu instid0(VALU_DEP_2) | instskip(NEXT) | instid1(VALU_DEP_4)
	v_fma_f32 v9, -0.5, v9, v0
	v_sub_f32_e32 v0, v4, v6
	s_delay_alu instid0(VALU_DEP_3) | instskip(SKIP_2) | instid1(VALU_DEP_1)
	v_add_f32_e32 v10, v10, v3
	v_fma_f32 v7, v51, v11, -v7
	v_dual_add_f32 v11, v4, v6 :: v_dual_add_f32 v4, v1, v4
	v_fma_f32 v11, -0.5, v11, v1
	s_delay_alu instid0(VALU_DEP_2) | instskip(SKIP_1) | instid1(VALU_DEP_2)
	v_dual_sub_f32 v1, v14, v3 :: v_dual_add_f32 v14, v4, v6
	v_dual_add_f32 v3, v16, v8 :: v_dual_add_f32 v4, v2, v5
	v_dual_add_f32 v6, v12, v16 :: v_dual_fmamk_f32 v15, v1, 0x3f5db3d7, v11
	v_fmamk_f32 v13, v0, 0xbf5db3d7, v9
	v_dual_fmac_f32 v9, 0x3f5db3d7, v0 :: v_dual_add_f32 v0, v5, v7
	s_delay_alu instid0(VALU_DEP_4) | instskip(SKIP_2) | instid1(VALU_DEP_4)
	v_fmac_f32_e32 v12, -0.5, v3
	v_sub_f32_e32 v3, v5, v7
	v_fmac_f32_e32 v11, 0xbf5db3d7, v1
	v_dual_add_f32 v7, v4, v7 :: v_dual_fmac_f32 v2, -0.5, v0
	v_sub_f32_e32 v0, v16, v8
	s_delay_alu instid0(VALU_DEP_1) | instskip(NEXT) | instid1(VALU_DEP_1)
	v_fmamk_f32 v1, v0, 0x3f5db3d7, v2
	v_dual_fmac_f32 v2, 0xbf5db3d7, v0 :: v_dual_mul_f32 v17, 0.5, v1
	v_dual_fmamk_f32 v5, v3, 0xbf5db3d7, v12 :: v_dual_add_f32 v6, v6, v8
	v_fmac_f32_e32 v12, 0x3f5db3d7, v3
	v_dual_mul_f32 v8, 0xbf5db3d7, v1 :: v_dual_add_f32 v1, v14, v7
	s_delay_alu instid0(VALU_DEP_4) | instskip(NEXT) | instid1(VALU_DEP_4)
	v_dual_mul_f32 v18, -0.5, v2 :: v_dual_sub_f32 v7, v14, v7
	v_fmac_f32_e32 v17, 0x3f5db3d7, v5
	v_mul_f32_e32 v16, 0xbf5db3d7, v2
	v_add_f32_e32 v0, v10, v6
	s_delay_alu instid0(VALU_DEP_4) | instskip(SKIP_1) | instid1(VALU_DEP_4)
	v_fmac_f32_e32 v18, 0x3f5db3d7, v12
	v_fmac_f32_e32 v8, 0.5, v5
	v_dual_add_f32 v3, v15, v17 :: v_dual_fmac_f32 v16, -0.5, v12
	v_sub_f32_e32 v6, v10, v6
	s_delay_alu instid0(VALU_DEP_3) | instskip(NEXT) | instid1(VALU_DEP_3)
	v_dual_add_f32 v5, v11, v18 :: v_dual_add_f32 v2, v13, v8
	v_dual_sub_f32 v11, v11, v18 :: v_dual_add_f32 v4, v9, v16
	v_sub_f32_e32 v8, v13, v8
	v_dual_sub_f32 v10, v9, v16 :: v_dual_sub_f32 v9, v15, v17
	ds_store_2addr_b64 v65, v[0:1], v[2:3] offset1:39
	ds_store_2addr_b64 v65, v[4:5], v[6:7] offset0:78 offset1:117
	ds_store_2addr_b64 v65, v[8:9], v[10:11] offset0:156 offset1:195
	global_wb scope:SCOPE_SE
	s_wait_dscnt 0x0
	s_barrier_signal -1
	s_barrier_wait -1
	global_inv scope:SCOPE_SE
	ds_load_2addr_b64 v[0:3], v36 offset0:106 offset1:223
	ds_load_2addr_b64 v[4:7], v37 offset0:84 offset1:201
	ds_load_2addr_b64 v[8:11], v61 offset1:117
	s_wait_dscnt 0x2
	v_mul_f32_e32 v13, v33, v0
	s_wait_dscnt 0x1
	v_dual_mul_f32 v12, v33, v1 :: v_dual_mul_f32 v15, v31, v7
	s_delay_alu instid0(VALU_DEP_2) | instskip(NEXT) | instid1(VALU_DEP_2)
	v_fma_f32 v1, v32, v1, -v13
	v_dual_mul_f32 v13, v29, v3 :: v_dual_fmac_f32 v12, v32, v0
	s_delay_alu instid0(VALU_DEP_3) | instskip(NEXT) | instid1(VALU_DEP_2)
	v_dual_mul_f32 v14, v35, v5 :: v_dual_fmac_f32 v15, v30, v6
	v_dual_fmac_f32 v13, v28, v2 :: v_dual_mul_f32 v0, v35, v4
	s_delay_alu instid0(VALU_DEP_2) | instskip(SKIP_1) | instid1(VALU_DEP_3)
	v_fmac_f32_e32 v14, v34, v4
	v_mul_f32_e32 v4, v29, v2
	v_fma_f32 v5, v34, v5, -v0
	v_mul_f32_e32 v0, v31, v6
	s_delay_alu instid0(VALU_DEP_3) | instskip(SKIP_1) | instid1(VALU_DEP_3)
	v_fma_f32 v16, v28, v3, -v4
	s_wait_dscnt 0x0
	v_dual_add_f32 v3, v8, v12 :: v_dual_add_f32 v4, v1, v5
	s_delay_alu instid0(VALU_DEP_3) | instskip(SKIP_2) | instid1(VALU_DEP_2)
	v_fma_f32 v7, v30, v7, -v0
	v_add_f32_e32 v2, v12, v14
	v_sub_f32_e32 v6, v1, v5
	v_fma_f32 v0, -0.5, v2, v8
	v_dual_add_f32 v2, v3, v14 :: v_dual_add_f32 v3, v9, v1
	v_fma_f32 v1, -0.5, v4, v9
	v_add_f32_e32 v9, v10, v13
	s_delay_alu instid0(VALU_DEP_4)
	v_fmamk_f32 v4, v6, 0xbf5db3d7, v0
	v_fmac_f32_e32 v0, 0x3f5db3d7, v6
	v_add_f32_e32 v6, v13, v15
	v_dual_sub_f32 v13, v13, v15 :: v_dual_sub_f32 v8, v12, v14
	v_add_f32_e32 v3, v3, v5
	v_add_f32_e32 v14, v11, v16
	s_delay_alu instid0(VALU_DEP_4)
	v_fma_f32 v10, -0.5, v6, v10
	v_sub_f32_e32 v12, v16, v7
	v_fmamk_f32 v5, v8, 0x3f5db3d7, v1
	v_dual_fmac_f32 v1, 0xbf5db3d7, v8 :: v_dual_add_f32 v8, v16, v7
	v_add_f32_e32 v6, v9, v15
	v_add_f32_e32 v7, v14, v7
	s_delay_alu instid0(VALU_DEP_3) | instskip(NEXT) | instid1(VALU_DEP_1)
	v_dual_fmac_f32 v11, -0.5, v8 :: v_dual_fmamk_f32 v8, v12, 0xbf5db3d7, v10
	v_dual_fmac_f32 v10, 0x3f5db3d7, v12 :: v_dual_fmamk_f32 v9, v13, 0x3f5db3d7, v11
	v_fmac_f32_e32 v11, 0xbf5db3d7, v13
	ds_store_2addr_b64 v61, v[2:3], v[6:7] offset1:117
	ds_store_2addr_b64 v36, v[4:5], v[8:9] offset0:106 offset1:223
	ds_store_2addr_b64 v37, v[0:1], v[10:11] offset0:84 offset1:201
	global_wb scope:SCOPE_SE
	s_wait_dscnt 0x0
	s_barrier_signal -1
	s_barrier_wait -1
	global_inv scope:SCOPE_SE
	s_and_b32 exec_lo, exec_lo, vcc_lo
	s_cbranch_execz .LBB0_15
; %bb.14:
	s_clause 0xb
	global_load_b64 v[24:25], v59, s[8:9]
	global_load_b64 v[26:27], v59, s[8:9] offset:432
	global_load_b64 v[28:29], v59, s[8:9] offset:864
	;; [unrolled: 1-line block ×11, first 2 shown]
	v_mad_co_u64_u32 v[49:50], null, s0, v60, 0
	v_mad_co_u64_u32 v[12:13], null, s2, v48, 0
	s_delay_alu instid0(VALU_DEP_2) | instskip(NEXT) | instid1(VALU_DEP_2)
	v_mov_b32_e32 v4, v50
	v_mov_b32_e32 v0, v13
	s_delay_alu instid0(VALU_DEP_2) | instskip(SKIP_1) | instid1(VALU_DEP_3)
	v_mad_co_u64_u32 v[14:15], null, s1, v60, v[4:5]
	v_add_nc_u32_e32 v15, 0x800, v59
	v_mad_co_u64_u32 v[8:9], null, s3, v48, v[0:1]
	ds_load_b64 v[51:52], v61
	ds_load_2addr_b64 v[0:3], v59 offset0:54 offset1:108
	ds_load_2addr_b64 v[4:7], v59 offset0:162 offset1:216
	v_add_nc_u32_e32 v16, 0xc00, v59
	v_mov_b32_e32 v50, v14
	v_add_nc_u32_e32 v20, 0x1000, v59
	s_mov_b32 s2, 0xc201756d
	v_mov_b32_e32 v13, v8
	ds_load_2addr_b64 v[8:11], v15 offset0:14 offset1:68
	s_mov_b32 s3, 0x3f5756ca
	s_mul_u64 s[0:1], s[0:1], 0x1b0
	v_lshlrev_b64_e32 v[53:54], 3, v[12:13]
	s_delay_alu instid0(VALU_DEP_1) | instskip(NEXT) | instid1(VALU_DEP_2)
	v_add_co_u32 v53, vcc_lo, s12, v53
	v_add_co_ci_u32_e32 v54, vcc_lo, s13, v54, vcc_lo
	s_wait_loadcnt_dscnt 0xa02
	v_mul_f32_e32 v55, v1, v27
	v_lshlrev_b64_e32 v[48:49], 3, v[49:50]
	s_wait_loadcnt_dscnt 0x801
	v_dual_mul_f32 v50, v52, v25 :: v_dual_mul_f32 v57, v5, v31
	v_mul_f32_e32 v25, v51, v25
	v_dual_mul_f32 v27, v0, v27 :: v_dual_mul_f32 v56, v3, v29
	v_mul_f32_e32 v29, v2, v29
	ds_load_2addr_b64 v[12:15], v15 offset0:122 offset1:176
	ds_load_2addr_b64 v[16:19], v16 offset0:102 offset1:156
	;; [unrolled: 1-line block ×3, first 2 shown]
	s_wait_loadcnt 0x7
	v_dual_mul_f32 v31, v4, v31 :: v_dual_mul_f32 v58, v7, v33
	s_wait_loadcnt_dscnt 0x603
	v_dual_mul_f32 v33, v6, v33 :: v_dual_mul_f32 v60, v9, v35
	v_dual_mul_f32 v35, v8, v35 :: v_dual_fmac_f32 v50, v51, v24
	v_fma_f32 v24, v24, v52, -v25
	s_wait_loadcnt 0x5
	v_mul_f32_e32 v61, v11, v37
	v_mul_f32_e32 v37, v10, v37
	v_fmac_f32_e32 v55, v0, v26
	v_fma_f32 v25, v26, v1, -v27
	v_fmac_f32_e32 v56, v2, v28
	v_fma_f32 v26, v28, v3, -v29
	;; [unrolled: 2-line block ×4, first 2 shown]
	s_wait_loadcnt_dscnt 0x402
	v_mul_f32_e32 v62, v13, v39
	v_mul_f32_e32 v39, v12, v39
	s_wait_loadcnt_dscnt 0x0
	v_dual_mul_f32 v63, v15, v41 :: v_dual_mul_f32 v66, v21, v47
	v_dual_mul_f32 v41, v14, v41 :: v_dual_fmac_f32 v60, v8, v34
	v_mul_f32_e32 v64, v17, v43
	v_mul_f32_e32 v43, v16, v43
	v_dual_mul_f32 v65, v19, v45 :: v_dual_fmac_f32 v62, v12, v38
	s_delay_alu instid0(VALU_DEP_3)
	v_dual_mul_f32 v45, v18, v45 :: v_dual_fmac_f32 v64, v16, v42
	v_mul_f32_e32 v47, v20, v47
	v_fma_f32 v29, v34, v9, -v35
	v_cvt_f64_f32_e32 v[0:1], v50
	v_cvt_f64_f32_e32 v[2:3], v24
	v_dual_fmac_f32 v61, v10, v36 :: v_dual_fmac_f32 v66, v20, v46
	v_fma_f32 v30, v36, v11, -v37
	v_cvt_f64_f32_e32 v[4:5], v55
	v_cvt_f64_f32_e32 v[6:7], v25
	v_fma_f32 v32, v38, v13, -v39
	v_cvt_f64_f32_e32 v[8:9], v56
	v_cvt_f64_f32_e32 v[10:11], v26
	v_fmac_f32_e32 v63, v14, v40
	v_fma_f32 v36, v40, v15, -v41
	v_cvt_f64_f32_e32 v[12:13], v57
	v_cvt_f64_f32_e32 v[14:15], v27
	v_fma_f32 v40, v42, v17, -v43
	v_fmac_f32_e32 v65, v18, v44
	v_fma_f32 v44, v44, v19, -v45
	v_cvt_f64_f32_e32 v[16:17], v58
	v_cvt_f64_f32_e32 v[18:19], v28
	v_fma_f32 v51, v46, v21, -v47
	v_cvt_f64_f32_e32 v[20:21], v60
	v_cvt_f64_f32_e32 v[24:25], v29
	;; [unrolled: 1-line block ×14, first 2 shown]
	v_add_co_u32 v48, vcc_lo, v53, v48
	s_wait_alu 0xfffd
	v_add_co_ci_u32_e32 v49, vcc_lo, v54, v49, vcc_lo
	s_wait_alu 0xfffe
	v_mul_f64_e32 v[0:1], s[2:3], v[0:1]
	v_mul_f64_e32 v[2:3], s[2:3], v[2:3]
	v_add_co_u32 v52, vcc_lo, v48, s0
	s_wait_alu 0xfffd
	v_add_co_ci_u32_e32 v53, vcc_lo, s1, v49, vcc_lo
	v_mul_f64_e32 v[4:5], s[2:3], v[4:5]
	v_mul_f64_e32 v[6:7], s[2:3], v[6:7]
	;; [unrolled: 1-line block ×4, first 2 shown]
	v_add_co_u32 v54, vcc_lo, v52, s0
	v_mul_f64_e32 v[12:13], s[2:3], v[12:13]
	v_mul_f64_e32 v[14:15], s[2:3], v[14:15]
	s_wait_alu 0xfffd
	v_add_co_ci_u32_e32 v55, vcc_lo, s1, v53, vcc_lo
	v_add_co_u32 v56, vcc_lo, v54, s0
	v_mul_f64_e32 v[16:17], s[2:3], v[16:17]
	v_mul_f64_e32 v[18:19], s[2:3], v[18:19]
	;; [unrolled: 1-line block ×16, first 2 shown]
	s_wait_alu 0xfffd
	v_add_co_ci_u32_e32 v57, vcc_lo, s1, v55, vcc_lo
	v_add_co_u32 v60, vcc_lo, v56, s0
	v_cvt_f32_f64_e32 v0, v[0:1]
	v_cvt_f32_f64_e32 v1, v[2:3]
	s_wait_alu 0xfffd
	v_add_co_ci_u32_e32 v61, vcc_lo, s1, v57, vcc_lo
	v_add_co_u32 v62, vcc_lo, v60, s0
	v_cvt_f32_f64_e32 v2, v[4:5]
	v_cvt_f32_f64_e32 v3, v[6:7]
	;; [unrolled: 1-line block ×4, first 2 shown]
	s_wait_alu 0xfffd
	v_add_co_ci_u32_e32 v63, vcc_lo, s1, v61, vcc_lo
	v_cvt_f32_f64_e32 v6, v[12:13]
	v_cvt_f32_f64_e32 v7, v[14:15]
	;; [unrolled: 1-line block ×18, first 2 shown]
	v_add_co_u32 v26, vcc_lo, v62, s0
	s_wait_alu 0xfffd
	v_add_co_ci_u32_e32 v27, vcc_lo, s1, v63, vcc_lo
	s_delay_alu instid0(VALU_DEP_2) | instskip(SKIP_1) | instid1(VALU_DEP_2)
	v_add_co_u32 v28, vcc_lo, v26, s0
	s_wait_alu 0xfffd
	v_add_co_ci_u32_e32 v29, vcc_lo, s1, v27, vcc_lo
	s_delay_alu instid0(VALU_DEP_2) | instskip(SKIP_1) | instid1(VALU_DEP_2)
	;; [unrolled: 4-line block ×5, first 2 shown]
	v_add_co_u32 v36, vcc_lo, v34, s0
	s_wait_alu 0xfffd
	v_add_co_ci_u32_e32 v37, vcc_lo, s1, v35, vcc_lo
	s_clause 0x4
	global_store_b64 v[48:49], v[0:1], off
	global_store_b64 v[52:53], v[2:3], off
	global_store_b64 v[54:55], v[4:5], off
	global_store_b64 v[56:57], v[6:7], off
	global_store_b64 v[60:61], v[8:9], off
	global_store_b64 v[62:63], v[10:11], off
	global_store_b64 v[26:27], v[12:13], off
	global_store_b64 v[28:29], v[14:15], off
	global_store_b64 v[30:31], v[16:17], off
	global_store_b64 v[32:33], v[18:19], off
	global_store_b64 v[34:35], v[20:21], off
	global_store_b64 v[36:37], v[24:25], off
	global_load_b64 v[0:1], v59, s[8:9] offset:5184
	s_wait_loadcnt 0x0
	v_mul_f32_e32 v2, v23, v1
	v_mul_f32_e32 v1, v22, v1
	s_delay_alu instid0(VALU_DEP_2) | instskip(NEXT) | instid1(VALU_DEP_2)
	v_fmac_f32_e32 v2, v22, v0
	v_fma_f32 v3, v0, v23, -v1
	s_delay_alu instid0(VALU_DEP_2) | instskip(NEXT) | instid1(VALU_DEP_2)
	v_cvt_f64_f32_e32 v[0:1], v2
	v_cvt_f64_f32_e32 v[2:3], v3
	s_delay_alu instid0(VALU_DEP_2) | instskip(NEXT) | instid1(VALU_DEP_2)
	v_mul_f64_e32 v[0:1], s[2:3], v[0:1]
	v_mul_f64_e32 v[2:3], s[2:3], v[2:3]
	s_delay_alu instid0(VALU_DEP_2) | instskip(NEXT) | instid1(VALU_DEP_2)
	v_cvt_f32_f64_e32 v0, v[0:1]
	v_cvt_f32_f64_e32 v1, v[2:3]
	v_add_co_u32 v2, vcc_lo, v36, s0
	s_wait_alu 0xfffd
	v_add_co_ci_u32_e32 v3, vcc_lo, s1, v37, vcc_lo
	global_store_b64 v[2:3], v[0:1], off
.LBB0_15:
	s_nop 0
	s_sendmsg sendmsg(MSG_DEALLOC_VGPRS)
	s_endpgm
	.section	.rodata,"a",@progbits
	.p2align	6, 0x0
	.amdhsa_kernel bluestein_single_fwd_len702_dim1_sp_op_CI_CI
		.amdhsa_group_segment_fixed_size 5616
		.amdhsa_private_segment_fixed_size 0
		.amdhsa_kernarg_size 104
		.amdhsa_user_sgpr_count 2
		.amdhsa_user_sgpr_dispatch_ptr 0
		.amdhsa_user_sgpr_queue_ptr 0
		.amdhsa_user_sgpr_kernarg_segment_ptr 1
		.amdhsa_user_sgpr_dispatch_id 0
		.amdhsa_user_sgpr_private_segment_size 0
		.amdhsa_wavefront_size32 1
		.amdhsa_uses_dynamic_stack 0
		.amdhsa_enable_private_segment 0
		.amdhsa_system_sgpr_workgroup_id_x 1
		.amdhsa_system_sgpr_workgroup_id_y 0
		.amdhsa_system_sgpr_workgroup_id_z 0
		.amdhsa_system_sgpr_workgroup_info 0
		.amdhsa_system_vgpr_workitem_id 0
		.amdhsa_next_free_vgpr 157
		.amdhsa_next_free_sgpr 14
		.amdhsa_reserve_vcc 1
		.amdhsa_float_round_mode_32 0
		.amdhsa_float_round_mode_16_64 0
		.amdhsa_float_denorm_mode_32 3
		.amdhsa_float_denorm_mode_16_64 3
		.amdhsa_fp16_overflow 0
		.amdhsa_workgroup_processor_mode 1
		.amdhsa_memory_ordered 1
		.amdhsa_forward_progress 0
		.amdhsa_round_robin_scheduling 0
		.amdhsa_exception_fp_ieee_invalid_op 0
		.amdhsa_exception_fp_denorm_src 0
		.amdhsa_exception_fp_ieee_div_zero 0
		.amdhsa_exception_fp_ieee_overflow 0
		.amdhsa_exception_fp_ieee_underflow 0
		.amdhsa_exception_fp_ieee_inexact 0
		.amdhsa_exception_int_div_zero 0
	.end_amdhsa_kernel
	.text
.Lfunc_end0:
	.size	bluestein_single_fwd_len702_dim1_sp_op_CI_CI, .Lfunc_end0-bluestein_single_fwd_len702_dim1_sp_op_CI_CI
                                        ; -- End function
	.section	.AMDGPU.csdata,"",@progbits
; Kernel info:
; codeLenInByte = 12728
; NumSgprs: 16
; NumVgprs: 157
; ScratchSize: 0
; MemoryBound: 0
; FloatMode: 240
; IeeeMode: 1
; LDSByteSize: 5616 bytes/workgroup (compile time only)
; SGPRBlocks: 1
; VGPRBlocks: 19
; NumSGPRsForWavesPerEU: 16
; NumVGPRsForWavesPerEU: 157
; Occupancy: 9
; WaveLimiterHint : 1
; COMPUTE_PGM_RSRC2:SCRATCH_EN: 0
; COMPUTE_PGM_RSRC2:USER_SGPR: 2
; COMPUTE_PGM_RSRC2:TRAP_HANDLER: 0
; COMPUTE_PGM_RSRC2:TGID_X_EN: 1
; COMPUTE_PGM_RSRC2:TGID_Y_EN: 0
; COMPUTE_PGM_RSRC2:TGID_Z_EN: 0
; COMPUTE_PGM_RSRC2:TIDIG_COMP_CNT: 0
	.text
	.p2alignl 7, 3214868480
	.fill 96, 4, 3214868480
	.type	__hip_cuid_5a4541f282da47a4,@object ; @__hip_cuid_5a4541f282da47a4
	.section	.bss,"aw",@nobits
	.globl	__hip_cuid_5a4541f282da47a4
__hip_cuid_5a4541f282da47a4:
	.byte	0                               ; 0x0
	.size	__hip_cuid_5a4541f282da47a4, 1

	.ident	"AMD clang version 19.0.0git (https://github.com/RadeonOpenCompute/llvm-project roc-6.4.0 25133 c7fe45cf4b819c5991fe208aaa96edf142730f1d)"
	.section	".note.GNU-stack","",@progbits
	.addrsig
	.addrsig_sym __hip_cuid_5a4541f282da47a4
	.amdgpu_metadata
---
amdhsa.kernels:
  - .args:
      - .actual_access:  read_only
        .address_space:  global
        .offset:         0
        .size:           8
        .value_kind:     global_buffer
      - .actual_access:  read_only
        .address_space:  global
        .offset:         8
        .size:           8
        .value_kind:     global_buffer
      - .actual_access:  read_only
        .address_space:  global
        .offset:         16
        .size:           8
        .value_kind:     global_buffer
      - .actual_access:  read_only
        .address_space:  global
        .offset:         24
        .size:           8
        .value_kind:     global_buffer
      - .actual_access:  read_only
        .address_space:  global
        .offset:         32
        .size:           8
        .value_kind:     global_buffer
      - .offset:         40
        .size:           8
        .value_kind:     by_value
      - .address_space:  global
        .offset:         48
        .size:           8
        .value_kind:     global_buffer
      - .address_space:  global
        .offset:         56
        .size:           8
        .value_kind:     global_buffer
      - .address_space:  global
        .offset:         64
        .size:           8
        .value_kind:     global_buffer
      - .address_space:  global
        .offset:         72
        .size:           8
        .value_kind:     global_buffer
      - .offset:         80
        .size:           4
        .value_kind:     by_value
      - .address_space:  global
        .offset:         88
        .size:           8
        .value_kind:     global_buffer
      - .address_space:  global
        .offset:         96
        .size:           8
        .value_kind:     global_buffer
    .group_segment_fixed_size: 5616
    .kernarg_segment_align: 8
    .kernarg_segment_size: 104
    .language:       OpenCL C
    .language_version:
      - 2
      - 0
    .max_flat_workgroup_size: 117
    .name:           bluestein_single_fwd_len702_dim1_sp_op_CI_CI
    .private_segment_fixed_size: 0
    .sgpr_count:     16
    .sgpr_spill_count: 0
    .symbol:         bluestein_single_fwd_len702_dim1_sp_op_CI_CI.kd
    .uniform_work_group_size: 1
    .uses_dynamic_stack: false
    .vgpr_count:     157
    .vgpr_spill_count: 0
    .wavefront_size: 32
    .workgroup_processor_mode: 1
amdhsa.target:   amdgcn-amd-amdhsa--gfx1201
amdhsa.version:
  - 1
  - 2
...

	.end_amdgpu_metadata
